;; amdgpu-corpus repo=ROCm/rocFFT kind=compiled arch=gfx950 opt=O3
	.text
	.amdgcn_target "amdgcn-amd-amdhsa--gfx950"
	.amdhsa_code_object_version 6
	.protected	bluestein_single_back_len429_dim1_dp_op_CI_CI ; -- Begin function bluestein_single_back_len429_dim1_dp_op_CI_CI
	.globl	bluestein_single_back_len429_dim1_dp_op_CI_CI
	.p2align	8
	.type	bluestein_single_back_len429_dim1_dp_op_CI_CI,@function
bluestein_single_back_len429_dim1_dp_op_CI_CI: ; @bluestein_single_back_len429_dim1_dp_op_CI_CI
; %bb.0:
	s_load_dwordx4 s[4:7], s[0:1], 0x28
	v_mul_u32_u24_e32 v1, 0x691, v0
	v_lshrrev_b32_e32 v2, 16, v1
	v_mad_u64_u32 v[4:5], s[2:3], s2, 3, v[2:3]
	v_mov_b32_e32 v5, 0
	s_waitcnt lgkmcnt(0)
	v_cmp_gt_u64_e32 vcc, s[4:5], v[4:5]
	s_and_saveexec_b64 s[2:3], vcc
	s_cbranch_execz .LBB0_23
; %bb.1:
	v_mul_lo_u16_e32 v1, 39, v2
	s_mov_b32 s2, 0xaaaaaaab
	v_sub_u16_e32 v2, v0, v1
	v_mul_hi_u32 v0, v4, s2
	v_lshrrev_b32_e32 v0, 1, v0
	s_load_dwordx2 s[12:13], s[0:1], 0x0
	s_load_dwordx2 s[14:15], s[0:1], 0x38
	v_lshl_add_u32 v0, v0, 1, v0
	v_sub_u32_e32 v0, v4, v0
	v_mul_u32_u24_e32 v153, 0x1ad, v0
	v_lshlrev_b32_e32 v0, 4, v2
	v_accvgpr_write_b32 a4, v0
	v_lshlrev_b32_e32 v0, 4, v153
	v_accvgpr_write_b32 a0, v4
	v_cmp_gt_u16_e64 s[4:5], 33, v2
	v_accvgpr_write_b32 a2, v2
	v_accvgpr_write_b32 a1, v0
	s_and_saveexec_b64 s[2:3], s[4:5]
	s_cbranch_execz .LBB0_3
; %bb.2:
	s_load_dwordx2 s[8:9], s[0:1], 0x18
	v_accvgpr_read_b32 v10, a0
	v_mov_b32_e32 v0, s6
	v_mov_b32_e32 v1, s7
	v_accvgpr_read_b32 v108, a2
	s_waitcnt lgkmcnt(0)
	s_load_dwordx4 s[8:11], s[8:9], 0x0
	v_mov_b32_e32 v100, 0x210
	v_accvgpr_read_b32 v110, a4
	v_mov_b32_e32 v111, 0
	v_lshl_add_u64 v[40:41], s[12:13], 0, v[110:111]
	s_waitcnt lgkmcnt(0)
	v_mad_u64_u32 v[2:3], s[6:7], s10, v10, 0
	v_mad_u64_u32 v[4:5], s[6:7], s8, v108, 0
	v_mov_b32_e32 v6, v3
	v_mov_b32_e32 v8, v5
	v_mad_u64_u32 v[6:7], s[6:7], s11, v10, v[6:7]
	v_mov_b32_e32 v3, v6
	v_mad_u64_u32 v[6:7], s[6:7], s9, v108, v[8:9]
	v_mov_b32_e32 v5, v6
	v_lshl_add_u64 v[0:1], v[2:3], 4, v[0:1]
	v_lshl_add_u64 v[8:9], v[4:5], 4, v[0:1]
	v_mad_u64_u32 v[24:25], s[6:7], s8, v100, v[8:9]
	s_mul_i32 s6, s9, 0x210
	s_nop 0
	v_add_u32_e32 v25, s6, v25
	global_load_dwordx4 v[0:3], v[8:9], off
	global_load_dwordx4 v[4:7], v110, s[12:13]
	v_mad_u64_u32 v[26:27], s[10:11], s8, v100, v[24:25]
	v_add_u32_e32 v27, s6, v27
	global_load_dwordx4 v[12:15], v[24:25], off
	global_load_dwordx4 v[8:11], v[26:27], off
	global_load_dwordx4 v[16:19], v110, s[12:13] offset:528
	global_load_dwordx4 v[20:23], v110, s[12:13] offset:1056
	v_mad_u64_u32 v[42:43], s[10:11], s8, v100, v[26:27]
	v_add_u32_e32 v43, s6, v43
	v_mad_u64_u32 v[44:45], s[10:11], s8, v100, v[42:43]
	v_add_u32_e32 v45, s6, v45
	global_load_dwordx4 v[28:31], v[42:43], off
	global_load_dwordx4 v[24:27], v[44:45], off
	global_load_dwordx4 v[36:39], v110, s[12:13] offset:1584
	global_load_dwordx4 v[32:35], v110, s[12:13] offset:2112
	v_mad_u64_u32 v[46:47], s[10:11], s8, v100, v[44:45]
	v_add_u32_e32 v47, s6, v47
	v_mad_u64_u32 v[58:59], s[10:11], s8, v100, v[46:47]
	global_load_dwordx4 v[42:45], v[46:47], off
	v_add_u32_e32 v59, s6, v59
	global_load_dwordx4 v[46:49], v[58:59], off
	global_load_dwordx4 v[50:53], v110, s[12:13] offset:2640
	global_load_dwordx4 v[54:57], v110, s[12:13] offset:3168
	v_mad_u64_u32 v[66:67], s[10:11], s8, v100, v[58:59]
	v_add_u32_e32 v67, s6, v67
	s_movk_i32 s7, 0x1000
	global_load_dwordx4 v[58:61], v[66:67], off
	global_load_dwordx4 v[62:65], v110, s[12:13] offset:3696
	v_mad_u64_u32 v[74:75], s[10:11], s8, v100, v[66:67]
	v_add_co_u32_e32 v40, vcc, s7, v40
	v_add_u32_e32 v75, s6, v75
	s_nop 0
	v_addc_co_u32_e32 v41, vcc, 0, v41, vcc
	global_load_dwordx4 v[66:69], v[74:75], off
	global_load_dwordx4 v[70:73], v[40:41], off offset:128
	v_mad_u64_u32 v[82:83], s[10:11], s8, v100, v[74:75]
	v_add_u32_e32 v83, s6, v83
	global_load_dwordx4 v[74:77], v[82:83], off
	global_load_dwordx4 v[78:81], v[40:41], off offset:656
	v_mad_u64_u32 v[90:91], s[10:11], s8, v100, v[82:83]
	v_add_u32_e32 v91, s6, v91
	;; [unrolled: 4-line block ×4, first 2 shown]
	global_load_dwordx4 v[98:101], v[40:41], off offset:2240
	global_load_dwordx4 v[102:105], v[106:107], off
	v_accvgpr_read_b32 v41, a1
	v_lshl_add_u32 v40, v108, 4, v41
	v_add_u32_e32 v41, v41, v110
	s_waitcnt vmcnt(24)
	v_mul_f64 v[106:107], v[2:3], v[6:7]
	v_mul_f64 v[6:7], v[0:1], v[6:7]
	v_fmac_f64_e32 v[106:107], v[0:1], v[4:5]
	v_fma_f64 v[108:109], v[2:3], v[4:5], -v[6:7]
	s_waitcnt vmcnt(21)
	v_mul_f64 v[0:1], v[14:15], v[18:19]
	v_mul_f64 v[2:3], v[12:13], v[18:19]
	v_fmac_f64_e32 v[0:1], v[12:13], v[16:17]
	v_fma_f64 v[2:3], v[14:15], v[16:17], -v[2:3]
	ds_write_b128 v40, v[106:109]
	ds_write_b128 v41, v[0:3] offset:528
	s_waitcnt vmcnt(20)
	v_mul_f64 v[0:1], v[10:11], v[22:23]
	v_mul_f64 v[2:3], v[8:9], v[22:23]
	v_fmac_f64_e32 v[0:1], v[8:9], v[20:21]
	v_fma_f64 v[2:3], v[10:11], v[20:21], -v[2:3]
	ds_write_b128 v41, v[0:3] offset:1056
	s_waitcnt vmcnt(17)
	v_mul_f64 v[0:1], v[30:31], v[38:39]
	v_mul_f64 v[2:3], v[28:29], v[38:39]
	v_fmac_f64_e32 v[0:1], v[28:29], v[36:37]
	v_fma_f64 v[2:3], v[30:31], v[36:37], -v[2:3]
	;; [unrolled: 6-line block ×11, first 2 shown]
	ds_write_b128 v41, v[0:3] offset:6336
.LBB0_3:
	s_or_b64 exec, exec, s[2:3]
	s_waitcnt lgkmcnt(0)
	s_barrier
	s_waitcnt lgkmcnt(0)
                                        ; implicit-def: $vgpr4_vgpr5
                                        ; implicit-def: $vgpr8_vgpr9
                                        ; implicit-def: $vgpr12_vgpr13
                                        ; implicit-def: $vgpr16_vgpr17
                                        ; implicit-def: $vgpr20_vgpr21
                                        ; implicit-def: $vgpr24_vgpr25
                                        ; implicit-def: $vgpr28_vgpr29
                                        ; implicit-def: $vgpr32_vgpr33
                                        ; implicit-def: $vgpr44_vgpr45
                                        ; implicit-def: $vgpr48_vgpr49
                                        ; implicit-def: $vgpr56_vgpr57
                                        ; implicit-def: $vgpr60_vgpr61
                                        ; implicit-def: $vgpr64_vgpr65
	s_and_saveexec_b64 s[2:3], s[4:5]
	s_cbranch_execz .LBB0_5
; %bb.4:
	v_accvgpr_read_b32 v0, a4
	v_lshl_add_u32 v0, v153, 4, v0
	ds_read_b128 v[4:7], v0
	ds_read_b128 v[8:11], v0 offset:528
	ds_read_b128 v[12:15], v0 offset:1056
	ds_read_b128 v[16:19], v0 offset:1584
	ds_read_b128 v[20:23], v0 offset:2112
	ds_read_b128 v[24:27], v0 offset:2640
	ds_read_b128 v[28:31], v0 offset:3168
	ds_read_b128 v[32:35], v0 offset:3696
	ds_read_b128 v[44:47], v0 offset:4224
	ds_read_b128 v[48:51], v0 offset:4752
	ds_read_b128 v[56:59], v0 offset:5280
	ds_read_b128 v[60:63], v0 offset:5808
	ds_read_b128 v[64:67], v0 offset:6336
.LBB0_5:
	s_or_b64 exec, exec, s[2:3]
	s_mov_b32 s28, 0x4267c47c
	s_waitcnt lgkmcnt(0)
	v_add_f64 v[76:77], v[10:11], -v[66:67]
	s_mov_b32 s2, 0xe00740e9
	s_mov_b32 s29, 0xbfddbe06
	;; [unrolled: 1-line block ×3, first 2 shown]
	v_add_f64 v[96:97], v[8:9], v[64:65]
	v_add_f64 v[102:103], v[8:9], -v[64:65]
	s_mov_b32 s3, 0x3fec55a7
	v_mul_f64 v[80:81], v[76:77], s[28:29]
	s_mov_b32 s8, 0x1ea71119
	s_mov_b32 s23, 0xbfea55e2
	v_add_f64 v[162:163], v[14:15], -v[62:63]
	v_add_f64 v[104:105], v[10:11], v[66:67]
	v_mul_f64 v[82:83], v[102:103], s[28:29]
	v_fma_f64 v[0:1], s[2:3], v[96:97], v[80:81]
	s_mov_b32 s9, 0x3fe22d96
	s_mov_b32 s30, 0x66966769
	v_add_f64 v[110:111], v[12:13], v[60:61]
	v_add_f64 v[130:131], v[12:13], -v[60:61]
	v_mul_f64 v[84:85], v[162:163], s[22:23]
	v_add_f64 v[0:1], v[4:5], v[0:1]
	v_fma_f64 v[2:3], v[104:105], s[2:3], -v[82:83]
	s_mov_b32 s10, 0xebaa3ed8
	s_mov_b32 s31, 0xbfefc445
	v_add_f64 v[112:113], v[14:15], v[62:63]
	v_mul_f64 v[86:87], v[130:131], s[22:23]
	v_fma_f64 v[36:37], s[8:9], v[110:111], v[84:85]
	v_add_f64 v[186:187], v[18:19], -v[58:59]
	v_add_f64 v[2:3], v[6:7], v[2:3]
	s_mov_b32 s11, 0x3fbedb7d
	s_mov_b32 s26, 0x2ef20147
	v_add_f64 v[0:1], v[36:37], v[0:1]
	v_fma_f64 v[36:37], v[112:113], s[8:9], -v[86:87]
	v_add_f64 v[118:119], v[16:17], v[56:57]
	v_add_f64 v[168:169], v[16:17], -v[56:57]
	v_mul_f64 v[88:89], v[186:187], s[30:31]
	s_mov_b32 s20, 0xb2365da1
	s_mov_b32 s27, 0xbfedeba7
	v_add_f64 v[2:3], v[36:37], v[2:3]
	v_add_f64 v[120:121], v[18:19], v[58:59]
	v_mul_f64 v[90:91], v[168:169], s[30:31]
	v_fma_f64 v[36:37], s[10:11], v[118:119], v[88:89]
	v_add_f64 v[200:201], v[22:23], -v[50:51]
	s_mov_b32 s21, 0xbfd6b1d8
	s_mov_b32 s36, 0x24c2f84
	v_add_f64 v[0:1], v[36:37], v[0:1]
	v_fma_f64 v[36:37], v[120:121], s[10:11], -v[90:91]
	v_add_f64 v[124:125], v[20:21], v[48:49]
	v_add_f64 v[188:189], v[20:21], -v[48:49]
	v_mul_f64 v[92:93], v[200:201], s[26:27]
	s_mov_b32 s18, 0xd0032e0c
	s_mov_b32 s37, 0x3fe5384d
	v_add_f64 v[2:3], v[36:37], v[2:3]
	v_add_f64 v[126:127], v[22:23], v[50:51]
	v_mul_f64 v[94:95], v[188:189], s[26:27]
	v_fma_f64 v[36:37], s[20:21], v[124:125], v[92:93]
	v_add_f64 v[206:207], v[26:27], -v[46:47]
	s_mov_b32 s39, 0xbfe5384d
	s_mov_b32 s38, s36
	;; [unrolled: 1-line block ×4, first 2 shown]
	v_add_f64 v[0:1], v[36:37], v[0:1]
	v_fma_f64 v[36:37], v[126:127], s[20:21], -v[94:95]
	v_add_f64 v[134:135], v[24:25], v[44:45]
	v_add_f64 v[196:197], v[24:25], -v[44:45]
	v_mul_f64 v[98:99], v[206:207], s[38:39]
	s_mov_b32 s16, 0x93053d00
	s_mov_b32 s35, 0xbfcea1e5
	v_add_f64 v[2:3], v[36:37], v[2:3]
	v_add_f64 v[136:137], v[26:27], v[46:47]
	v_mul_f64 v[100:101], v[196:197], s[38:39]
	v_fma_f64 v[36:37], s[18:19], v[134:135], v[98:99]
	v_add_f64 v[220:221], v[30:31], -v[34:35]
	s_mov_b32 s17, 0xbfef11f4
	v_add_f64 v[0:1], v[36:37], v[0:1]
	v_fma_f64 v[36:37], v[136:137], s[18:19], -v[100:101]
	v_add_f64 v[154:155], v[28:29], v[32:33]
	v_mul_f64 v[106:107], v[220:221], s[34:35]
	v_add_f64 v[210:211], v[28:29], -v[32:33]
	v_add_f64 v[2:3], v[36:37], v[2:3]
	v_fma_f64 v[36:37], s[16:17], v[154:155], v[106:107]
	v_add_f64 v[158:159], v[30:31], v[34:35]
	v_mul_f64 v[108:109], v[210:211], s[34:35]
	v_add_f64 v[248:249], v[36:37], v[0:1]
	v_fma_f64 v[36:37], v[158:159], s[16:17], -v[108:109]
	v_mul_f64 v[114:115], v[76:77], s[22:23]
	v_add_f64 v[250:251], v[36:37], v[2:3]
	v_fma_f64 v[36:37], s[8:9], v[96:97], v[114:115]
	v_mul_f64 v[116:117], v[162:163], s[26:27]
	v_add_f64 v[36:37], v[4:5], v[36:37]
	v_fma_f64 v[38:39], s[20:21], v[110:111], v[116:117]
	v_mul_f64 v[128:129], v[102:103], s[22:23]
	v_add_f64 v[36:37], v[38:39], v[36:37]
	v_fma_f64 v[38:39], v[104:105], s[8:9], -v[128:129]
	v_mul_f64 v[138:139], v[130:131], s[26:27]
	v_add_f64 v[38:39], v[6:7], v[38:39]
	v_fma_f64 v[40:41], v[112:113], s[20:21], -v[138:139]
	v_mul_f64 v[122:123], v[186:187], s[34:35]
	v_add_f64 v[38:39], v[40:41], v[38:39]
	v_fma_f64 v[40:41], s[16:17], v[118:119], v[122:123]
	v_mul_f64 v[142:143], v[168:169], s[34:35]
	v_add_f64 v[36:37], v[40:41], v[36:37]
	v_fma_f64 v[40:41], v[120:121], s[16:17], -v[142:143]
	v_mul_f64 v[132:133], v[200:201], s[36:37]
	v_add_f64 v[38:39], v[40:41], v[38:39]
	v_fma_f64 v[40:41], s[18:19], v[124:125], v[132:133]
	v_mul_f64 v[144:145], v[188:189], s[36:37]
	s_mov_b32 s41, 0x3fefc445
	s_mov_b32 s40, s30
	v_add_f64 v[36:37], v[40:41], v[36:37]
	v_fma_f64 v[40:41], v[126:127], s[18:19], -v[144:145]
	v_mul_f64 v[140:141], v[206:207], s[40:41]
	v_add_f64 v[38:39], v[40:41], v[38:39]
	v_fma_f64 v[40:41], s[10:11], v[134:135], v[140:141]
	v_mul_f64 v[156:157], v[196:197], s[40:41]
	s_mov_b32 s43, 0x3fddbe06
	s_mov_b32 s42, s28
	v_add_f64 v[36:37], v[40:41], v[36:37]
	v_fma_f64 v[40:41], v[136:137], s[10:11], -v[156:157]
	v_mul_f64 v[146:147], v[220:221], s[42:43]
	v_add_f64 v[38:39], v[40:41], v[38:39]
	v_fma_f64 v[40:41], s[2:3], v[154:155], v[146:147]
	v_mul_f64 v[160:161], v[210:211], s[42:43]
	v_add_f64 v[40:41], v[40:41], v[36:37]
	v_fma_f64 v[36:37], v[158:159], s[2:3], -v[160:161]
	v_mul_f64 v[164:165], v[76:77], s[30:31]
	v_add_f64 v[42:43], v[36:37], v[38:39]
	v_fma_f64 v[36:37], s[10:11], v[96:97], v[164:165]
	v_mul_f64 v[166:167], v[162:163], s[34:35]
	v_add_f64 v[36:37], v[4:5], v[36:37]
	v_fma_f64 v[38:39], s[16:17], v[110:111], v[166:167]
	v_mul_f64 v[172:173], v[102:103], s[30:31]
	v_add_f64 v[36:37], v[38:39], v[36:37]
	v_fma_f64 v[38:39], v[104:105], s[10:11], -v[172:173]
	v_mul_f64 v[176:177], v[130:131], s[34:35]
	s_mov_b32 s47, 0x3fedeba7
	s_mov_b32 s46, s26
	v_add_f64 v[38:39], v[6:7], v[38:39]
	v_fma_f64 v[52:53], v[112:113], s[16:17], -v[176:177]
	v_mul_f64 v[170:171], v[186:187], s[46:47]
	v_add_f64 v[38:39], v[52:53], v[38:39]
	v_fma_f64 v[52:53], s[20:21], v[118:119], v[170:171]
	v_mul_f64 v[180:181], v[168:169], s[46:47]
	v_add_f64 v[36:37], v[52:53], v[36:37]
	v_fma_f64 v[52:53], v[120:121], s[20:21], -v[180:181]
	v_mul_f64 v[174:175], v[200:201], s[42:43]
	v_add_f64 v[38:39], v[52:53], v[38:39]
	v_fma_f64 v[52:53], s[2:3], v[124:125], v[174:175]
	v_mul_f64 v[184:185], v[188:189], s[42:43]
	;; [unrolled: 6-line block ×5, first 2 shown]
	v_add_f64 v[36:37], v[4:5], v[36:37]
	v_fma_f64 v[38:39], s[18:19], v[110:111], v[198:199]
	v_mul_f64 v[150:151], v[102:103], s[26:27]
	v_add_f64 v[36:37], v[38:39], v[36:37]
	v_fma_f64 v[38:39], v[104:105], s[20:21], -v[150:151]
	v_mul_f64 v[148:149], v[130:131], s[36:37]
	v_add_f64 v[38:39], v[6:7], v[38:39]
	v_fma_f64 v[68:69], v[112:113], s[18:19], -v[148:149]
	v_mul_f64 v[202:203], v[186:187], s[42:43]
	v_add_f64 v[38:39], v[68:69], v[38:39]
	v_fma_f64 v[68:69], s[2:3], v[118:119], v[202:203]
	v_mul_f64 v[216:217], v[168:169], s[42:43]
	v_add_f64 v[36:37], v[68:69], v[36:37]
	v_fma_f64 v[68:69], v[120:121], s[2:3], -v[216:217]
	v_mul_f64 v[204:205], v[200:201], s[30:31]
	v_add_f64 v[38:39], v[68:69], v[38:39]
	v_fma_f64 v[68:69], s[10:11], v[124:125], v[204:205]
	v_mul_f64 v[218:219], v[188:189], s[30:31]
	s_mov_b32 s45, 0x3fcea1e5
	s_mov_b32 s44, s34
	v_add_f64 v[36:37], v[68:69], v[36:37]
	v_fma_f64 v[68:69], v[126:127], s[10:11], -v[218:219]
	v_mul_f64 v[208:209], v[206:207], s[44:45]
	v_add_f64 v[38:39], v[68:69], v[38:39]
	v_fma_f64 v[68:69], s[16:17], v[134:135], v[208:209]
	v_mul_f64 v[222:223], v[196:197], s[44:45]
	s_mov_b32 s49, 0x3fea55e2
	s_mov_b32 s48, s22
	s_load_dwordx2 s[6:7], s[0:1], 0x20
	s_nop 0
	s_load_dwordx2 s[0:1], s[0:1], 0x8
	v_add_f64 v[36:37], v[68:69], v[36:37]
	v_fma_f64 v[68:69], v[136:137], s[16:17], -v[222:223]
	v_mul_f64 v[212:213], v[220:221], s[48:49]
	v_add_f64 v[38:39], v[68:69], v[38:39]
	v_fma_f64 v[68:69], s[8:9], v[154:155], v[212:213]
	v_mul_f64 v[224:225], v[210:211], s[48:49]
	v_accvgpr_read_b32 v0, a2
	v_add_f64 v[36:37], v[68:69], v[36:37]
	v_fma_f64 v[68:69], v[158:159], s[8:9], -v[224:225]
	v_mul_lo_u16_e32 v0, 13, v0
	v_add_f64 v[38:39], v[68:69], v[38:39]
	v_accvgpr_write_b32 a3, v0
	s_waitcnt lgkmcnt(0)
	s_barrier
	s_and_saveexec_b64 s[24:25], s[4:5]
	s_cbranch_execz .LBB0_7
; %bb.6:
	v_mul_f64 v[234:235], v[104:105], s[16:17]
	v_mul_f64 v[230:231], v[112:113], s[2:3]
	v_fma_f64 v[236:237], s[44:45], v[102:103], v[234:235]
	v_mul_f64 v[226:227], v[120:121], s[18:19]
	v_fma_f64 v[232:233], s[28:29], v[130:131], v[230:231]
	v_add_f64 v[236:237], v[6:7], v[236:237]
	v_mul_f64 v[78:79], v[126:127], s[8:9]
	v_fma_f64 v[228:229], s[36:37], v[168:169], v[226:227]
	v_add_f64 v[232:233], v[232:233], v[236:237]
	;; [unrolled: 3-line block ×4, first 2 shown]
	v_mul_f64 v[240:241], v[76:77], s[34:35]
	v_fmac_f64_e32 v[234:235], s[34:35], v[102:103]
	v_fma_f64 v[68:69], s[30:31], v[210:211], v[72:73]
	v_add_f64 v[70:71], v[70:71], v[214:215]
	v_mul_f64 v[238:239], v[162:163], s[42:43]
	v_fma_f64 v[214:215], s[16:17], v[96:97], v[240:241]
	v_fmac_f64_e32 v[230:231], s[42:43], v[130:131]
	v_add_f64 v[234:235], v[6:7], v[234:235]
	v_add_f64 v[70:71], v[68:69], v[70:71]
	v_mul_f64 v[236:237], v[186:187], s[38:39]
	v_fma_f64 v[68:69], s[2:3], v[110:111], v[238:239]
	v_add_f64 v[214:215], v[4:5], v[214:215]
	v_fmac_f64_e32 v[226:227], s[38:39], v[168:169]
	v_add_f64 v[230:231], v[230:231], v[234:235]
	v_mul_f64 v[232:233], v[200:201], s[48:49]
	v_add_f64 v[68:69], v[68:69], v[214:215]
	v_fma_f64 v[214:215], s[18:19], v[118:119], v[236:237]
	v_fmac_f64_e32 v[78:79], s[48:49], v[188:189]
	v_add_f64 v[226:227], v[226:227], v[230:231]
	v_mul_f64 v[228:229], v[206:207], s[26:27]
	v_add_f64 v[68:69], v[214:215], v[68:69]
	v_fma_f64 v[214:215], s[8:9], v[124:125], v[232:233]
	v_fmac_f64_e32 v[74:75], s[26:27], v[196:197]
	v_add_f64 v[78:79], v[78:79], v[226:227]
	v_add_f64 v[68:69], v[214:215], v[68:69]
	v_fma_f64 v[214:215], s[20:21], v[134:135], v[228:229]
	v_mul_f64 v[242:243], v[220:221], s[40:41]
	v_fmac_f64_e32 v[72:73], s[40:41], v[210:211]
	v_add_f64 v[74:75], v[74:75], v[78:79]
	v_fma_f64 v[226:227], v[124:125], s[8:9], -v[232:233]
	v_fma_f64 v[232:233], v[96:97], s[16:17], -v[240:241]
	v_mul_f64 v[240:241], v[104:105], s[18:19]
	v_add_f64 v[68:69], v[214:215], v[68:69]
	v_fma_f64 v[214:215], s[10:11], v[154:155], v[242:243]
	v_add_f64 v[74:75], v[72:73], v[74:75]
	v_fma_f64 v[72:73], v[154:155], s[10:11], -v[242:243]
	v_fma_f64 v[78:79], v[134:135], s[20:21], -v[228:229]
	;; [unrolled: 1-line block ×4, first 2 shown]
	v_add_f64 v[232:233], v[4:5], v[232:233]
	v_mul_f64 v[236:237], v[112:113], s[10:11]
	v_fma_f64 v[242:243], s[36:37], v[102:103], v[240:241]
	v_add_f64 v[230:231], v[230:231], v[232:233]
	v_mul_f64 v[234:235], v[120:121], s[8:9]
	v_fma_f64 v[238:239], s[30:31], v[130:131], v[236:237]
	v_add_f64 v[242:243], v[6:7], v[242:243]
	v_add_f64 v[228:229], v[228:229], v[230:231]
	v_mul_f64 v[232:233], v[126:127], s[16:17]
	v_add_f64 v[238:239], v[238:239], v[242:243]
	v_fma_f64 v[242:243], s[48:49], v[168:169], v[234:235]
	v_add_f64 v[226:227], v[226:227], v[228:229]
	v_mul_f64 v[228:229], v[136:137], s[2:3]
	v_add_f64 v[238:239], v[242:243], v[238:239]
	v_fma_f64 v[242:243], s[34:35], v[188:189], v[232:233]
	v_fma_f64 v[230:231], s[28:29], v[196:197], v[228:229]
	v_add_f64 v[238:239], v[242:243], v[238:239]
	v_add_f64 v[78:79], v[78:79], v[226:227]
	v_mul_f64 v[226:227], v[158:159], s[20:21]
	v_add_f64 v[230:231], v[230:231], v[238:239]
	v_mul_f64 v[238:239], v[76:77], s[38:39]
	v_add_f64 v[72:73], v[72:73], v[78:79]
	v_fma_f64 v[78:79], s[46:47], v[210:211], v[226:227]
	v_mul_f64 v[162:163], v[162:163], s[40:41]
	v_fma_f64 v[76:77], s[18:19], v[96:97], v[238:239]
	v_add_f64 v[78:79], v[78:79], v[230:231]
	v_mul_f64 v[186:187], v[186:187], s[22:23]
	v_fma_f64 v[230:231], s[10:11], v[110:111], v[162:163]
	v_add_f64 v[76:77], v[4:5], v[76:77]
	v_mul_f64 v[200:201], v[200:201], s[44:45]
	v_add_f64 v[76:77], v[230:231], v[76:77]
	v_fma_f64 v[230:231], s[8:9], v[118:119], v[186:187]
	v_mul_f64 v[206:207], v[206:207], s[42:43]
	v_add_f64 v[76:77], v[230:231], v[76:77]
	v_fma_f64 v[230:231], s[16:17], v[124:125], v[200:201]
	;; [unrolled: 3-line block ×3, first 2 shown]
	v_fmac_f64_e32 v[240:241], s[38:39], v[102:103]
	v_add_f64 v[68:69], v[214:215], v[68:69]
	v_mul_f64 v[214:215], v[96:97], s[2:3]
	v_add_f64 v[76:77], v[230:231], v[76:77]
	v_fma_f64 v[230:231], s[20:21], v[154:155], v[220:221]
	v_mul_f64 v[242:243], v[96:97], s[8:9]
	v_fmac_f64_e32 v[228:229], s[42:43], v[196:197]
	v_mul_f64 v[196:197], v[96:97], s[10:11]
	v_fmac_f64_e32 v[234:235], s[22:23], v[168:169]
	;; [unrolled: 2-line block ×3, first 2 shown]
	v_add_f64 v[102:103], v[6:7], v[240:241]
	v_fma_f64 v[96:97], v[96:97], s[18:19], -v[238:239]
	v_add_f64 v[76:77], v[230:231], v[76:77]
	v_mul_f64 v[230:231], v[104:105], s[2:3]
	v_fmac_f64_e32 v[226:227], s[26:27], v[210:211]
	v_mul_f64 v[210:211], v[104:105], s[8:9]
	v_fmac_f64_e32 v[232:233], s[44:45], v[188:189]
	v_mul_f64 v[188:189], v[104:105], s[10:11]
	v_mul_f64 v[244:245], v[104:105], s[20:21]
	v_add_f64 v[102:103], v[236:237], v[102:103]
	v_fma_f64 v[104:105], v[110:111], s[10:11], -v[162:163]
	v_add_f64 v[96:97], v[4:5], v[96:97]
	v_add_f64 v[102:103], v[234:235], v[102:103]
	;; [unrolled: 1-line block ×3, first 2 shown]
	v_fma_f64 v[104:105], v[118:119], s[8:9], -v[186:187]
	v_add_f64 v[102:103], v[232:233], v[102:103]
	v_add_f64 v[96:97], v[104:105], v[96:97]
	v_fma_f64 v[104:105], v[124:125], s[16:17], -v[200:201]
	v_add_f64 v[102:103], v[228:229], v[102:103]
	v_add_f64 v[96:97], v[104:105], v[96:97]
	v_fma_f64 v[104:105], v[134:135], s[2:3], -v[206:207]
	v_mul_f64 v[246:247], v[112:113], s[8:9]
	v_mul_f64 v[234:235], v[112:113], s[20:21]
	v_mul_f64 v[228:229], v[112:113], s[16:17]
	v_mul_f64 v[112:113], v[112:113], s[18:19]
	v_add_f64 v[96:97], v[104:105], v[96:97]
	v_add_f64 v[104:105], v[226:227], v[102:103]
	v_fma_f64 v[102:103], v[154:155], s[20:21], -v[220:221]
	v_mul_f64 v[220:221], v[158:159], s[8:9]
	v_add_f64 v[150:151], v[150:151], v[244:245]
	v_mul_f64 v[130:131], v[110:111], s[8:9]
	v_mul_f64 v[236:237], v[110:111], s[20:21]
	;; [unrolled: 1-line block ×6, first 2 shown]
	v_add_f64 v[102:103], v[102:103], v[96:97]
	v_mul_f64 v[96:97], v[120:121], s[20:21]
	v_mul_f64 v[120:121], v[120:121], s[2:3]
	v_add_f64 v[220:221], v[224:225], v[220:221]
	v_mul_f64 v[224:225], v[136:137], s[16:17]
	v_add_f64 v[112:113], v[148:149], v[112:113]
	v_add_f64 v[150:151], v[6:7], v[150:151]
	v_add_f64 v[168:169], v[168:169], -v[194:195]
	v_mul_f64 v[162:163], v[118:119], s[10:11]
	v_mul_f64 v[186:187], v[118:119], s[16:17]
	;; [unrolled: 1-line block ×4, first 2 shown]
	v_add_f64 v[222:223], v[222:223], v[224:225]
	v_mul_f64 v[224:225], v[126:127], s[10:11]
	v_add_f64 v[120:121], v[216:217], v[120:121]
	v_add_f64 v[112:113], v[112:113], v[150:151]
	v_add_f64 v[110:111], v[110:111], -v[198:199]
	v_add_f64 v[168:169], v[4:5], v[168:169]
	v_add_f64 v[218:219], v[218:219], v[224:225]
	v_mul_f64 v[224:225], v[124:125], s[20:21]
	v_mul_f64 v[148:149], v[124:125], s[18:19]
	;; [unrolled: 1-line block ×4, first 2 shown]
	v_add_f64 v[112:113], v[120:121], v[112:113]
	v_mul_f64 v[120:121], v[154:155], s[8:9]
	v_add_f64 v[118:119], v[118:119], -v[202:203]
	v_add_f64 v[110:111], v[110:111], v[168:169]
	v_add_f64 v[120:121], v[120:121], -v[212:213]
	v_mul_f64 v[212:213], v[134:135], s[16:17]
	v_add_f64 v[124:125], v[124:125], -v[204:205]
	v_add_f64 v[110:111], v[118:119], v[110:111]
	v_add_f64 v[208:209], v[212:213], -v[208:209]
	v_add_f64 v[110:111], v[124:125], v[110:111]
	v_add_f64 v[112:113], v[218:219], v[112:113]
	v_mul_f64 v[218:219], v[136:137], s[18:19]
	v_mul_f64 v[204:205], v[136:137], s[10:11]
	;; [unrolled: 1-line block ×3, first 2 shown]
	v_add_f64 v[110:111], v[208:209], v[110:111]
	v_mul_f64 v[216:217], v[126:127], s[20:21]
	v_mul_f64 v[226:227], v[126:127], s[18:19]
	;; [unrolled: 1-line block ×3, first 2 shown]
	v_add_f64 v[110:111], v[120:121], v[110:111]
	v_add_f64 v[120:121], v[190:191], v[136:137]
	;; [unrolled: 1-line block ×7, first 2 shown]
	v_add_f64 v[136:137], v[196:197], -v[164:165]
	v_add_f64 v[128:129], v[128:129], v[210:211]
	v_add_f64 v[114:115], v[242:243], -v[114:115]
	v_add_f64 v[82:83], v[82:83], v[230:231]
	;; [unrolled: 2-line block ×3, first 2 shown]
	v_add_f64 v[136:137], v[4:5], v[136:137]
	v_add_f64 v[128:129], v[6:7], v[128:129]
	;; [unrolled: 1-line block ×10, first 2 shown]
	v_mul_f64 v[198:199], v[158:159], s[16:17]
	v_mul_f64 v[168:169], v[158:159], s[2:3]
	;; [unrolled: 1-line block ×3, first 2 shown]
	v_add_f64 v[96:97], v[124:125], v[96:97]
	v_add_f64 v[6:7], v[6:7], v[18:19]
	;; [unrolled: 1-line block ×3, first 2 shown]
	v_mul_f64 v[240:241], v[134:135], s[18:19]
	v_mul_f64 v[212:213], v[134:135], s[10:11]
	;; [unrolled: 1-line block ×3, first 2 shown]
	v_add_f64 v[118:119], v[192:193], v[158:159]
	v_add_f64 v[96:97], v[120:121], v[96:97]
	v_add_f64 v[6:7], v[6:7], v[22:23]
	v_add_f64 v[4:5], v[4:5], v[20:21]
	v_add_f64 v[120:121], v[118:119], v[96:97]
	v_add_f64 v[118:119], v[134:135], -v[178:179]
	v_add_f64 v[134:135], v[232:233], -v[166:167]
	v_add_f64 v[6:7], v[6:7], v[26:27]
	v_add_f64 v[4:5], v[4:5], v[24:25]
	v_add_f64 v[126:127], v[206:207], -v[170:171]
	v_add_f64 v[134:135], v[134:135], v[136:137]
	v_add_f64 v[136:137], v[138:139], v[234:235]
	;; [unrolled: 1-line block ×4, first 2 shown]
	v_add_f64 v[124:125], v[150:151], -v[174:175]
	v_add_f64 v[126:127], v[126:127], v[134:135]
	v_add_f64 v[134:135], v[142:143], v[200:201]
	;; [unrolled: 1-line block ×3, first 2 shown]
	v_add_f64 v[116:117], v[236:237], -v[116:117]
	v_add_f64 v[6:7], v[6:7], v[34:35]
	v_add_f64 v[4:5], v[4:5], v[32:33]
	v_mul_f64 v[202:203], v[154:155], s[16:17]
	v_mul_f64 v[194:195], v[154:155], s[2:3]
	;; [unrolled: 1-line block ×3, first 2 shown]
	v_add_f64 v[124:125], v[124:125], v[126:127]
	v_add_f64 v[126:127], v[144:145], v[226:227]
	;; [unrolled: 1-line block ×3, first 2 shown]
	v_add_f64 v[122:123], v[186:187], -v[122:123]
	v_add_f64 v[114:115], v[116:117], v[114:115]
	v_add_f64 v[86:87], v[86:87], v[246:247]
	v_add_f64 v[84:85], v[130:131], -v[84:85]
	v_add_f64 v[6:7], v[6:7], v[46:47]
	v_add_f64 v[4:5], v[4:5], v[44:45]
	;; [unrolled: 3-line block ×3, first 2 shown]
	v_add_f64 v[126:127], v[126:127], v[128:129]
	v_add_f64 v[128:129], v[148:149], -v[132:133]
	v_add_f64 v[114:115], v[122:123], v[114:115]
	v_add_f64 v[90:91], v[90:91], v[238:239]
	;; [unrolled: 1-line block ×3, first 2 shown]
	v_add_f64 v[88:89], v[162:163], -v[88:89]
	v_add_f64 v[80:81], v[84:85], v[80:81]
	v_add_f64 v[6:7], v[6:7], v[50:51]
	;; [unrolled: 1-line block ×6, first 2 shown]
	v_add_f64 v[126:127], v[212:213], -v[140:141]
	v_add_f64 v[114:115], v[128:129], v[114:115]
	v_add_f64 v[94:95], v[94:95], v[216:217]
	;; [unrolled: 1-line block ×3, first 2 shown]
	v_add_f64 v[92:93], v[224:225], -v[92:93]
	v_add_f64 v[80:81], v[88:89], v[80:81]
	v_add_f64 v[6:7], v[6:7], v[58:59]
	;; [unrolled: 1-line block ×4, first 2 shown]
	v_add_f64 v[96:97], v[194:195], -v[146:147]
	v_add_f64 v[114:115], v[126:127], v[114:115]
	v_add_f64 v[100:101], v[100:101], v[218:219]
	;; [unrolled: 1-line block ×3, first 2 shown]
	v_add_f64 v[90:91], v[240:241], -v[98:99]
	v_add_f64 v[80:81], v[92:93], v[80:81]
	v_add_f64 v[6:7], v[6:7], v[62:63]
	;; [unrolled: 1-line block ×3, first 2 shown]
	v_accvgpr_read_b32 v0, a3
	v_add_f64 v[112:113], v[222:223], v[112:113]
	v_add_f64 v[122:123], v[96:97], v[114:115]
	;; [unrolled: 1-line block ×4, first 2 shown]
	v_add_f64 v[86:87], v[202:203], -v[106:107]
	v_add_f64 v[80:81], v[90:91], v[80:81]
	v_add_f64 v[6:7], v[6:7], v[66:67]
	v_add_f64 v[4:5], v[4:5], v[64:65]
	v_add_lshl_u32 v0, v153, v0, 4
	v_add_f64 v[112:113], v[220:221], v[112:113]
	v_add_f64 v[82:83], v[96:97], v[82:83]
	;; [unrolled: 1-line block ×3, first 2 shown]
	ds_write_b128 v0, v[4:7]
	ds_write_b128 v0, v[80:83] offset:16
	ds_write_b128 v0, v[122:125] offset:32
	;; [unrolled: 1-line block ×12, first 2 shown]
.LBB0_7:
	s_or_b64 exec, exec, s[24:25]
	v_accvgpr_read_b32 v0, a2
	v_add_lshl_u32 v152, v153, v0, 4
	s_waitcnt lgkmcnt(0)
	s_barrier
	ds_read_b128 v[56:59], v152
	ds_read_b128 v[48:51], v152 offset:624
	ds_read_b128 v[68:71], v152 offset:4576
	;; [unrolled: 1-line block ×8, first 2 shown]
	v_cmp_gt_u16_e64 s[2:3], 26, v0
	s_and_saveexec_b64 s[8:9], s[2:3]
	s_cbranch_execz .LBB0_9
; %bb.8:
	ds_read_b128 v[36:39], v152 offset:1872
	ds_read_b128 v[52:55], v152 offset:4160
	ds_read_b128 v[40:43], v152 offset:6448
.LBB0_9:
	s_or_b64 exec, exec, s[8:9]
	s_movk_i32 s8, 0x4f
	v_accvgpr_read_b32 v6, a2
	v_mul_lo_u16_sdwa v0, v6, s8 dst_sel:DWORD dst_unused:UNUSED_PAD src0_sel:BYTE_0 src1_sel:DWORD
	v_lshrrev_b16_e32 v0, 10, v0
	v_mul_lo_u16_e32 v1, 13, v0
	v_sub_u16_e32 v1, v6, v1
	v_mov_b32_e32 v2, 5
	v_lshlrev_b32_sdwa v3, v2, v1 dst_sel:DWORD dst_unused:UNUSED_PAD src0_sel:DWORD src1_sel:BYTE_0
	global_load_dwordx4 v[12:15], v3, s[0:1] offset:16
	global_load_dwordx4 v[16:19], v3, s[0:1]
	v_add_u16_e32 v3, 39, v6
	v_mul_lo_u16_sdwa v4, v3, s8 dst_sel:DWORD dst_unused:UNUSED_PAD src0_sel:BYTE_0 src1_sel:DWORD
	v_lshrrev_b16_e32 v108, 10, v4
	v_mul_lo_u16_e32 v4, 13, v108
	v_sub_u16_e32 v3, v3, v4
	v_lshlrev_b32_sdwa v4, v2, v3 dst_sel:DWORD dst_unused:UNUSED_PAD src0_sel:DWORD src1_sel:BYTE_0
	global_load_dwordx4 v[20:23], v4, s[0:1] offset:16
	global_load_dwordx4 v[24:27], v4, s[0:1]
	v_add_u16_e32 v4, 0x4e, v6
	v_mul_lo_u16_sdwa v5, v4, s8 dst_sel:DWORD dst_unused:UNUSED_PAD src0_sel:BYTE_0 src1_sel:DWORD
	v_lshrrev_b16_e32 v109, 10, v5
	v_mul_lo_u16_e32 v5, 13, v109
	v_sub_u16_e32 v110, v4, v5
	v_lshlrev_b32_sdwa v4, v2, v110 dst_sel:DWORD dst_unused:UNUSED_PAD src0_sel:DWORD src1_sel:BYTE_0
	global_load_dwordx4 v[28:31], v4, s[0:1] offset:16
	global_load_dwordx4 v[32:35], v4, s[0:1]
	v_add_u16_e32 v4, 0x75, v6
	v_mul_lo_u16_sdwa v5, v4, s8 dst_sel:DWORD dst_unused:UNUSED_PAD src0_sel:BYTE_0 src1_sel:DWORD
	v_lshrrev_b16_e32 v111, 10, v5
	v_mul_lo_u16_e32 v5, 13, v111
	v_sub_u16_e32 v4, v4, v5
	v_lshlrev_b32_sdwa v2, v2, v4 dst_sel:DWORD dst_unused:UNUSED_PAD src0_sel:DWORD src1_sel:BYTE_0
	global_load_dwordx4 v[116:119], v2, s[0:1]
	global_load_dwordx4 v[112:115], v2, s[0:1] offset:16
	v_accvgpr_write_b32 a5, v4
	s_load_dwordx4 s[8:11], s[6:7], 0x0
	s_mov_b32 s6, 0xe8584caa
	s_mov_b32 s7, 0x3febb67a
	;; [unrolled: 1-line block ×4, first 2 shown]
	v_mul_u32_u24_e32 v0, 39, v0
	v_add_u32_sdwa v0, v0, v1 dst_sel:DWORD dst_unused:UNUSED_PAD src0_sel:DWORD src1_sel:BYTE_0
	v_add_lshl_u32 v0, v153, v0, 4
	s_waitcnt lgkmcnt(0)
	s_barrier
	v_accvgpr_write_b32 a15, v0
	s_waitcnt vmcnt(7)
	v_mul_f64 v[86:87], v[68:69], v[14:15]
	s_waitcnt vmcnt(6)
	v_mul_f64 v[8:9], v[82:83], v[18:19]
	v_mul_f64 v[84:85], v[80:81], v[18:19]
	;; [unrolled: 1-line block ×3, first 2 shown]
	v_fma_f64 v[80:81], v[80:81], v[16:17], -v[8:9]
	v_fmac_f64_e32 v[84:85], v[82:83], v[16:17]
	v_fmac_f64_e32 v[86:87], v[70:71], v[12:13]
	s_waitcnt vmcnt(5)
	v_mul_f64 v[92:93], v[62:63], v[22:23]
	s_waitcnt vmcnt(4)
	v_mul_f64 v[88:89], v[78:79], v[26:27]
	v_mul_f64 v[90:91], v[76:77], v[26:27]
	;; [unrolled: 1-line block ×3, first 2 shown]
	v_fma_f64 v[68:69], v[68:69], v[12:13], -v[10:11]
	v_fma_f64 v[76:77], v[76:77], v[24:25], -v[88:89]
	v_fmac_f64_e32 v[90:91], v[78:79], v[24:25]
	s_waitcnt vmcnt(3)
	v_mul_f64 v[100:101], v[66:67], v[30:31]
	v_mul_f64 v[102:103], v[64:65], v[30:31]
	v_fma_f64 v[78:79], v[60:61], v[20:21], -v[92:93]
	v_fma_f64 v[92:93], v[64:65], v[28:29], -v[100:101]
	v_add_f64 v[64:65], v[84:85], v[86:87]
	s_waitcnt vmcnt(2)
	v_mul_f64 v[96:97], v[74:75], v[34:35]
	v_fmac_f64_e32 v[94:95], v[62:63], v[20:21]
	s_waitcnt vmcnt(1)
	v_mul_f64 v[4:5], v[52:53], v[118:119]
	s_waitcnt vmcnt(0)
	v_mul_f64 v[106:107], v[42:43], v[114:115]
	v_mul_f64 v[6:7], v[40:41], v[114:115]
	v_fma_f64 v[10:11], v[40:41], v[112:113], -v[106:107]
	v_add_f64 v[40:41], v[56:57], v[80:81]
	v_mul_f64 v[104:105], v[54:55], v[118:119]
	v_fmac_f64_e32 v[102:103], v[66:67], v[28:29]
	v_fmac_f64_e32 v[4:5], v[54:55], v[116:117]
	v_add_f64 v[54:55], v[58:59], v[84:85]
	v_add_f64 v[66:67], v[80:81], -v[68:69]
	v_add_f64 v[70:71], v[48:49], v[76:77]
	v_add_f64 v[60:61], v[40:41], v[68:69]
	v_fmac_f64_e32 v[58:59], -0.5, v[64:65]
	v_add_f64 v[40:41], v[50:51], v[90:91]
	v_mul_f64 v[98:99], v[72:73], v[34:35]
	v_fma_f64 v[88:89], v[72:73], v[32:33], -v[96:97]
	v_fmac_f64_e32 v[6:7], v[42:43], v[112:113]
	v_add_f64 v[42:43], v[80:81], v[68:69]
	v_add_f64 v[72:73], v[76:77], v[78:79]
	;; [unrolled: 1-line block ×3, first 2 shown]
	v_fma_f64 v[70:71], s[16:17], v[66:67], v[58:59]
	v_fmac_f64_e32 v[58:59], s[6:7], v[66:67]
	v_add_f64 v[66:67], v[40:41], v[94:95]
	v_add_f64 v[40:41], v[90:91], v[94:95]
	v_fmac_f64_e32 v[98:99], v[74:75], v[32:33]
	v_fma_f64 v[8:9], v[52:53], v[116:117], -v[104:105]
	v_add_f64 v[52:53], v[84:85], -v[86:87]
	v_add_f64 v[74:75], v[90:91], -v[94:95]
	v_fmac_f64_e32 v[56:57], -0.5, v[42:43]
	v_fmac_f64_e32 v[48:49], -0.5, v[72:73]
	;; [unrolled: 1-line block ×3, first 2 shown]
	v_add_f64 v[40:41], v[76:77], -v[78:79]
	v_add_f64 v[62:63], v[54:55], v[86:87]
	v_fma_f64 v[68:69], s[6:7], v[52:53], v[56:57]
	v_fmac_f64_e32 v[56:57], s[16:17], v[52:53]
	v_fma_f64 v[72:73], s[6:7], v[74:75], v[48:49]
	v_fmac_f64_e32 v[48:49], s[16:17], v[74:75]
	;; [unrolled: 2-line block ×3, first 2 shown]
	v_add_f64 v[40:41], v[44:45], v[88:89]
	v_add_f64 v[80:81], v[40:41], v[92:93]
	;; [unrolled: 1-line block ×3, first 2 shown]
	ds_write_b128 v0, v[60:63]
	ds_write_b128 v0, v[68:71] offset:208
	ds_write_b128 v0, v[56:59] offset:416
	v_mul_u32_u24_e32 v0, 39, v108
	v_fmac_f64_e32 v[44:45], -0.5, v[40:41]
	v_add_f64 v[40:41], v[98:99], -v[102:103]
	v_add_u32_sdwa v0, v0, v3 dst_sel:DWORD dst_unused:UNUSED_PAD src0_sel:DWORD src1_sel:BYTE_0
	v_fma_f64 v[84:85], s[6:7], v[40:41], v[44:45]
	v_fmac_f64_e32 v[44:45], s[16:17], v[40:41]
	v_add_f64 v[40:41], v[46:47], v[98:99]
	v_add_lshl_u32 v0, v153, v0, 4
	v_add_f64 v[82:83], v[40:41], v[102:103]
	v_add_f64 v[40:41], v[98:99], v[102:103]
	ds_write_b128 v0, v[64:67]
	ds_write_b128 v0, v[72:75] offset:208
	v_accvgpr_write_b32 a16, v0
	ds_write_b128 v0, v[48:51] offset:416
	v_mul_u32_u24_e32 v0, 39, v109
	v_fmac_f64_e32 v[46:47], -0.5, v[40:41]
	v_add_f64 v[40:41], v[88:89], -v[92:93]
	v_add_u32_sdwa v0, v0, v110 dst_sel:DWORD dst_unused:UNUSED_PAD src0_sel:DWORD src1_sel:BYTE_0
	v_fma_f64 v[86:87], s[16:17], v[40:41], v[46:47]
	v_fmac_f64_e32 v[46:47], s[6:7], v[40:41]
	v_add_f64 v[40:41], v[8:9], v[10:11]
	v_add_f64 v[52:53], v[4:5], v[6:7]
	v_add_lshl_u32 v0, v153, v0, 4
	v_accvgpr_write_b32 a10, v116
	v_accvgpr_write_b32 a6, v112
	v_fma_f64 v[40:41], -0.5, v[40:41], v[36:37]
	v_add_f64 v[42:43], v[4:5], -v[6:7]
	v_fma_f64 v[52:53], -0.5, v[52:53], v[38:39]
	v_add_f64 v[54:55], v[8:9], -v[10:11]
	ds_write_b128 v0, v[80:83]
	ds_write_b128 v0, v[84:87] offset:208
	v_accvgpr_write_b32 a17, v0
	ds_write_b128 v0, v[44:47] offset:416
	v_mul_u32_u24_e32 v0, 39, v111
	v_accvgpr_write_b32 a11, v117
	v_accvgpr_write_b32 a12, v118
	;; [unrolled: 1-line block ×6, first 2 shown]
	v_fma_f64 v[76:77], s[16:17], v[42:43], v[40:41]
	v_fma_f64 v[78:79], s[6:7], v[54:55], v[52:53]
	v_accvgpr_write_b32 a14, v0
	s_and_saveexec_b64 s[16:17], s[2:3]
	s_cbranch_execz .LBB0_11
; %bb.10:
	v_add_f64 v[4:5], v[38:39], v[4:5]
	v_accvgpr_read_b32 v0, a5
	v_accvgpr_read_b32 v1, a14
	v_add_f64 v[6:7], v[4:5], v[6:7]
	v_add_f64 v[4:5], v[36:37], v[8:9]
	v_add_u32_sdwa v0, v1, v0 dst_sel:DWORD dst_unused:UNUSED_PAD src0_sel:DWORD src1_sel:BYTE_0
	v_mul_f64 v[44:45], v[42:43], s[6:7]
	v_mul_f64 v[42:43], v[54:55], s[6:7]
	v_add_f64 v[4:5], v[4:5], v[10:11]
	v_add_lshl_u32 v0, v153, v0, 4
	v_add_f64 v[42:43], v[52:53], -v[42:43]
	v_add_f64 v[40:41], v[44:45], v[40:41]
	ds_write_b128 v0, v[4:7]
	ds_write_b128 v0, v[40:43] offset:208
	ds_write_b128 v0, v[76:79] offset:416
.LBB0_11:
	s_or_b64 exec, exec, s[16:17]
	s_movk_i32 s6, 0xa0
	v_mov_b64_e32 v[4:5], s[0:1]
	v_accvgpr_read_b32 v0, a2
	v_mad_u64_u32 v[4:5], s[0:1], v0, s6, v[4:5]
	s_waitcnt lgkmcnt(0)
	s_barrier
	global_load_dwordx4 v[48:51], v[4:5], off offset:416
	global_load_dwordx4 v[44:47], v[4:5], off offset:432
	;; [unrolled: 1-line block ×10, first 2 shown]
	ds_read_b128 v[6:9], v152
	ds_read_b128 v[80:83], v152 offset:624
	ds_read_b128 v[88:91], v152 offset:1248
	ds_read_b128 v[96:99], v152 offset:1872
	ds_read_b128 v[100:103], v152 offset:2496
	ds_read_b128 v[104:107], v152 offset:3120
	ds_read_b128 v[108:111], v152 offset:3744
	ds_read_b128 v[112:115], v152 offset:4368
	ds_read_b128 v[116:119], v152 offset:4992
	ds_read_b128 v[120:123], v152 offset:5616
	ds_read_b128 v[124:127], v152 offset:6240
	s_mov_b32 s20, 0xf8bb580b
	s_mov_b32 s18, 0x43842ef
	;; [unrolled: 1-line block ×26, first 2 shown]
	v_accvgpr_read_b32 v1, a1
	v_lshl_add_u32 v153, v0, 4, v1
	s_waitcnt vmcnt(9) lgkmcnt(9)
	v_mul_f64 v[4:5], v[82:83], v[50:51]
	v_mul_f64 v[10:11], v[80:81], v[50:51]
	s_waitcnt vmcnt(8) lgkmcnt(8)
	v_mul_f64 v[128:129], v[90:91], v[46:47]
	v_mul_f64 v[130:131], v[88:89], v[46:47]
	s_waitcnt vmcnt(6) lgkmcnt(6)
	v_mul_f64 v[92:93], v[100:101], v[38:39]
	s_waitcnt vmcnt(5) lgkmcnt(5)
	v_mul_f64 v[138:139], v[106:107], v[66:67]
	v_fma_f64 v[80:81], v[80:81], v[48:49], -v[4:5]
	v_fmac_f64_e32 v[10:11], v[82:83], v[48:49]
	v_mul_f64 v[132:133], v[98:99], v[42:43]
	s_waitcnt vmcnt(0) lgkmcnt(0)
	v_mul_f64 v[154:155], v[126:127], v[70:71]
	v_mul_f64 v[134:135], v[96:97], v[42:43]
	v_mul_f64 v[136:137], v[102:103], v[38:39]
	v_mul_f64 v[84:85], v[104:105], v[66:67]
	v_mul_f64 v[86:87], v[108:109], v[62:63]
	v_fma_f64 v[128:129], v[88:89], v[44:45], -v[128:129]
	v_fmac_f64_e32 v[130:131], v[90:91], v[44:45]
	v_fmac_f64_e32 v[92:93], v[102:103], v[36:37]
	v_fma_f64 v[88:89], v[104:105], v[64:65], -v[138:139]
	v_fma_f64 v[82:83], v[124:125], v[68:69], -v[154:155]
	v_add_f64 v[102:103], v[6:7], v[80:81]
	v_add_f64 v[104:105], v[8:9], v[10:11]
	v_mul_f64 v[140:141], v[110:111], v[62:63]
	v_fma_f64 v[132:133], v[96:97], v[40:41], -v[132:133]
	v_fmac_f64_e32 v[134:135], v[98:99], v[40:41]
	v_fmac_f64_e32 v[84:85], v[106:107], v[64:65]
	;; [unrolled: 1-line block ×3, first 2 shown]
	v_add_f64 v[106:107], v[80:81], v[82:83]
	v_add_f64 v[110:111], v[80:81], -v[82:83]
	v_add_f64 v[80:81], v[102:103], v[128:129]
	v_add_f64 v[102:103], v[104:105], v[130:131]
	v_fma_f64 v[96:97], v[100:101], v[36:37], -v[136:137]
	v_add_f64 v[80:81], v[80:81], v[132:133]
	v_add_f64 v[102:103], v[102:103], v[134:135]
	;; [unrolled: 1-line block ×4, first 2 shown]
	v_mul_f64 v[142:143], v[114:115], v[58:59]
	v_mul_f64 v[94:95], v[112:113], v[58:59]
	v_fma_f64 v[90:91], v[108:109], v[60:61], -v[140:141]
	v_add_f64 v[80:81], v[80:81], v[88:89]
	v_add_f64 v[102:103], v[102:103], v[84:85]
	v_mul_f64 v[144:145], v[118:119], v[54:55]
	v_mul_f64 v[146:147], v[116:117], v[54:55]
	v_fma_f64 v[4:5], v[112:113], v[56:57], -v[142:143]
	v_fmac_f64_e32 v[94:95], v[114:115], v[56:57]
	v_add_f64 v[80:81], v[80:81], v[90:91]
	v_add_f64 v[102:103], v[102:103], v[86:87]
	v_mul_f64 v[148:149], v[122:123], v[74:75]
	v_mul_f64 v[150:151], v[120:121], v[74:75]
	;; [unrolled: 1-line block ×3, first 2 shown]
	v_fma_f64 v[98:99], v[116:117], v[52:53], -v[144:145]
	v_fmac_f64_e32 v[146:147], v[118:119], v[52:53]
	v_add_f64 v[80:81], v[80:81], v[4:5]
	v_add_f64 v[102:103], v[102:103], v[94:95]
	v_fma_f64 v[100:101], v[120:121], v[72:73], -v[148:149]
	v_fmac_f64_e32 v[150:151], v[122:123], v[72:73]
	v_fmac_f64_e32 v[156:157], v[126:127], v[68:69]
	v_add_f64 v[80:81], v[80:81], v[98:99]
	v_add_f64 v[102:103], v[102:103], v[146:147]
	;; [unrolled: 1-line block ×3, first 2 shown]
	v_add_f64 v[10:11], v[10:11], -v[156:157]
	v_add_f64 v[80:81], v[80:81], v[100:101]
	v_add_f64 v[102:103], v[102:103], v[150:151]
	;; [unrolled: 1-line block ×4, first 2 shown]
	v_mul_f64 v[102:103], v[10:11], s[20:21]
	v_mul_f64 v[116:117], v[10:11], s[16:17]
	v_mul_f64 v[124:125], v[10:11], s[18:19]
	v_mul_f64 v[140:141], v[10:11], s[26:27]
	v_mul_f64 v[10:11], v[10:11], s[30:31]
	v_fma_f64 v[104:105], v[106:107], s[22:23], -v[102:103]
	v_mul_f64 v[112:113], v[110:111], s[20:21]
	v_fmac_f64_e32 v[102:103], s[22:23], v[106:107]
	v_fma_f64 v[118:119], v[106:107], s[0:1], -v[116:117]
	v_mul_f64 v[120:121], v[110:111], s[16:17]
	v_fmac_f64_e32 v[116:117], s[0:1], v[106:107]
	;; [unrolled: 3-line block ×5, first 2 shown]
	v_add_f64 v[104:105], v[6:7], v[104:105]
	v_fma_f64 v[114:115], s[22:23], v[108:109], v[112:113]
	v_add_f64 v[102:103], v[6:7], v[102:103]
	v_fma_f64 v[112:113], v[108:109], s[22:23], -v[112:113]
	v_add_f64 v[118:119], v[6:7], v[118:119]
	v_fma_f64 v[122:123], s[0:1], v[108:109], v[120:121]
	v_add_f64 v[116:117], v[6:7], v[116:117]
	v_fma_f64 v[120:121], v[108:109], s[0:1], -v[120:121]
	v_add_f64 v[126:127], v[6:7], v[126:127]
	v_fma_f64 v[138:139], s[6:7], v[108:109], v[136:137]
	v_add_f64 v[124:125], v[6:7], v[124:125]
	v_fma_f64 v[136:137], v[108:109], s[6:7], -v[136:137]
	v_add_f64 v[142:143], v[6:7], v[142:143]
	v_fma_f64 v[148:149], s[24:25], v[108:109], v[144:145]
	v_add_f64 v[140:141], v[6:7], v[140:141]
	v_fma_f64 v[144:145], v[108:109], s[24:25], -v[144:145]
	v_add_f64 v[154:155], v[6:7], v[154:155]
	v_fma_f64 v[156:157], s[28:29], v[108:109], v[110:111]
	v_add_f64 v[6:7], v[6:7], v[10:11]
	v_fma_f64 v[10:11], v[108:109], s[28:29], -v[110:111]
	v_add_f64 v[108:109], v[130:131], -v[150:151]
	v_add_f64 v[114:115], v[8:9], v[114:115]
	v_add_f64 v[112:113], v[8:9], v[112:113]
	;; [unrolled: 1-line block ×11, first 2 shown]
	v_mul_f64 v[110:111], v[108:109], s[16:17]
	v_add_f64 v[100:101], v[128:129], -v[100:101]
	v_fma_f64 v[128:129], v[10:11], s[0:1], -v[110:111]
	v_add_f64 v[106:107], v[130:131], v[150:151]
	v_add_f64 v[104:105], v[128:129], v[104:105]
	v_mul_f64 v[128:129], v[100:101], s[16:17]
	v_fmac_f64_e32 v[110:111], s[0:1], v[10:11]
	v_add_f64 v[102:103], v[110:111], v[102:103]
	v_fma_f64 v[110:111], v[106:107], s[0:1], -v[128:129]
	v_add_f64 v[110:111], v[110:111], v[112:113]
	v_mul_f64 v[112:113], v[108:109], s[26:27]
	v_fma_f64 v[130:131], s[0:1], v[106:107], v[128:129]
	v_fma_f64 v[128:129], v[10:11], s[24:25], -v[112:113]
	v_add_f64 v[118:119], v[128:129], v[118:119]
	v_mul_f64 v[128:129], v[100:101], s[26:27]
	v_fmac_f64_e32 v[112:113], s[24:25], v[10:11]
	v_add_f64 v[112:113], v[112:113], v[116:117]
	v_fma_f64 v[116:117], v[106:107], s[24:25], -v[128:129]
	v_add_f64 v[116:117], v[116:117], v[120:121]
	v_mul_f64 v[120:121], v[108:109], s[38:39]
	v_add_f64 v[114:115], v[130:131], v[114:115]
	v_fma_f64 v[130:131], s[24:25], v[106:107], v[128:129]
	v_fma_f64 v[128:129], v[10:11], s[28:29], -v[120:121]
	v_add_f64 v[126:127], v[128:129], v[126:127]
	v_mul_f64 v[128:129], v[100:101], s[38:39]
	v_fmac_f64_e32 v[120:121], s[28:29], v[10:11]
	v_add_f64 v[122:123], v[130:131], v[122:123]
	v_fma_f64 v[130:131], s[28:29], v[106:107], v[128:129]
	v_add_f64 v[120:121], v[120:121], v[124:125]
	v_fma_f64 v[124:125], v[106:107], s[28:29], -v[128:129]
	v_mul_f64 v[128:129], v[108:109], s[36:37]
	v_add_f64 v[130:131], v[130:131], v[138:139]
	v_add_f64 v[124:125], v[124:125], v[136:137]
	v_fma_f64 v[136:137], v[10:11], s[6:7], -v[128:129]
	v_mul_f64 v[138:139], v[100:101], s[36:37]
	v_add_f64 v[136:137], v[136:137], v[142:143]
	v_fma_f64 v[142:143], s[6:7], v[106:107], v[138:139]
	v_fmac_f64_e32 v[128:129], s[6:7], v[10:11]
	v_fma_f64 v[138:139], v[106:107], s[6:7], -v[138:139]
	v_mul_f64 v[108:109], v[108:109], s[34:35]
	v_mul_f64 v[100:101], v[100:101], s[34:35]
	v_add_f64 v[128:129], v[128:129], v[140:141]
	v_add_f64 v[138:139], v[138:139], v[144:145]
	v_fma_f64 v[140:141], v[10:11], s[22:23], -v[108:109]
	v_fma_f64 v[144:145], s[22:23], v[106:107], v[100:101]
	v_fmac_f64_e32 v[108:109], s[22:23], v[10:11]
	v_fma_f64 v[10:11], v[106:107], s[22:23], -v[100:101]
	v_add_f64 v[106:107], v[134:135], -v[146:147]
	v_add_f64 v[6:7], v[108:109], v[6:7]
	v_add_f64 v[8:9], v[10:11], v[8:9]
	;; [unrolled: 1-line block ×3, first 2 shown]
	v_mul_f64 v[108:109], v[106:107], s[18:19]
	v_add_f64 v[98:99], v[132:133], -v[98:99]
	v_fma_f64 v[132:133], v[10:11], s[6:7], -v[108:109]
	v_add_f64 v[100:101], v[134:135], v[146:147]
	v_add_f64 v[104:105], v[132:133], v[104:105]
	v_mul_f64 v[132:133], v[98:99], s[18:19]
	v_fmac_f64_e32 v[108:109], s[6:7], v[10:11]
	v_add_f64 v[102:103], v[108:109], v[102:103]
	v_fma_f64 v[108:109], v[100:101], s[6:7], -v[132:133]
	v_add_f64 v[108:109], v[108:109], v[110:111]
	v_mul_f64 v[110:111], v[106:107], s[38:39]
	v_fma_f64 v[134:135], s[6:7], v[100:101], v[132:133]
	v_fma_f64 v[132:133], v[10:11], s[28:29], -v[110:111]
	v_add_f64 v[118:119], v[132:133], v[118:119]
	v_mul_f64 v[132:133], v[98:99], s[38:39]
	v_fmac_f64_e32 v[110:111], s[28:29], v[10:11]
	v_add_f64 v[110:111], v[110:111], v[112:113]
	v_fma_f64 v[112:113], v[100:101], s[28:29], -v[132:133]
	s_mov_b32 s17, 0x3fed1bb4
	v_add_f64 v[112:113], v[112:113], v[116:117]
	v_mul_f64 v[116:117], v[106:107], s[16:17]
	v_add_f64 v[114:115], v[134:135], v[114:115]
	v_fma_f64 v[134:135], s[28:29], v[100:101], v[132:133]
	v_fma_f64 v[132:133], v[10:11], s[0:1], -v[116:117]
	v_add_f64 v[126:127], v[132:133], v[126:127]
	v_mul_f64 v[132:133], v[98:99], s[16:17]
	v_fmac_f64_e32 v[116:117], s[0:1], v[10:11]
	v_add_f64 v[116:117], v[116:117], v[120:121]
	v_fma_f64 v[120:121], v[100:101], s[0:1], -v[132:133]
	v_add_f64 v[122:123], v[134:135], v[122:123]
	v_fma_f64 v[134:135], s[0:1], v[100:101], v[132:133]
	v_add_f64 v[120:121], v[120:121], v[124:125]
	v_mul_f64 v[124:125], v[106:107], s[20:21]
	v_add_f64 v[130:131], v[134:135], v[130:131]
	v_fma_f64 v[132:133], v[10:11], s[22:23], -v[124:125]
	v_mul_f64 v[134:135], v[98:99], s[20:21]
	v_fmac_f64_e32 v[124:125], s[22:23], v[10:11]
	v_add_f64 v[124:125], v[124:125], v[128:129]
	v_fma_f64 v[128:129], v[100:101], s[22:23], -v[134:135]
	v_mul_f64 v[106:107], v[106:107], s[26:27]
	v_mul_f64 v[98:99], v[98:99], s[26:27]
	v_add_f64 v[132:133], v[132:133], v[136:137]
	v_fma_f64 v[136:137], s[22:23], v[100:101], v[134:135]
	v_add_f64 v[128:129], v[128:129], v[138:139]
	v_fma_f64 v[134:135], v[10:11], s[24:25], -v[106:107]
	v_fma_f64 v[138:139], s[24:25], v[100:101], v[98:99]
	v_fmac_f64_e32 v[106:107], s[24:25], v[10:11]
	v_fma_f64 v[10:11], v[100:101], s[24:25], -v[98:99]
	v_add_f64 v[98:99], v[92:93], v[94:95]
	v_add_f64 v[92:93], v[92:93], -v[94:95]
	v_add_f64 v[8:9], v[10:11], v[8:9]
	v_add_f64 v[10:11], v[96:97], v[4:5]
	v_add_f64 v[4:5], v[96:97], -v[4:5]
	v_mul_f64 v[94:95], v[92:93], s[26:27]
	v_fma_f64 v[96:97], v[10:11], s[24:25], -v[94:95]
	v_mul_f64 v[100:101], v[4:5], s[26:27]
	v_add_f64 v[96:97], v[96:97], v[104:105]
	v_fma_f64 v[104:105], s[24:25], v[98:99], v[100:101]
	v_fmac_f64_e32 v[94:95], s[24:25], v[10:11]
	v_fma_f64 v[100:101], v[98:99], s[24:25], -v[100:101]
	v_add_f64 v[94:95], v[94:95], v[102:103]
	v_add_f64 v[102:103], v[100:101], v[108:109]
	v_mul_f64 v[100:101], v[92:93], s[36:37]
	v_add_f64 v[6:7], v[106:107], v[6:7]
	v_fma_f64 v[106:107], v[10:11], s[6:7], -v[100:101]
	v_mul_f64 v[108:109], v[4:5], s[36:37]
	v_fmac_f64_e32 v[100:101], s[6:7], v[10:11]
	v_add_f64 v[110:111], v[100:101], v[110:111]
	v_fma_f64 v[100:101], v[98:99], s[6:7], -v[108:109]
	v_add_f64 v[104:105], v[104:105], v[114:115]
	v_fma_f64 v[114:115], s[6:7], v[98:99], v[108:109]
	v_add_f64 v[108:109], v[100:101], v[112:113]
	v_mul_f64 v[100:101], v[92:93], s[20:21]
	v_add_f64 v[106:107], v[106:107], v[118:119]
	v_fma_f64 v[112:113], v[10:11], s[22:23], -v[100:101]
	v_mul_f64 v[118:119], v[4:5], s[20:21]
	v_fmac_f64_e32 v[100:101], s[22:23], v[10:11]
	v_add_f64 v[116:117], v[100:101], v[116:117]
	v_fma_f64 v[100:101], v[98:99], s[22:23], -v[118:119]
	v_add_f64 v[114:115], v[114:115], v[122:123]
	v_fma_f64 v[122:123], s[22:23], v[98:99], v[118:119]
	v_add_f64 v[118:119], v[100:101], v[120:121]
	v_mul_f64 v[100:101], v[92:93], s[30:31]
	v_add_f64 v[112:113], v[112:113], v[126:127]
	v_fma_f64 v[120:121], v[10:11], s[28:29], -v[100:101]
	v_mul_f64 v[126:127], v[4:5], s[30:31]
	v_fmac_f64_e32 v[100:101], s[28:29], v[10:11]
	v_add_f64 v[142:143], v[142:143], v[148:149]
	v_add_f64 v[140:141], v[140:141], v[154:155]
	;; [unrolled: 1-line block ×3, first 2 shown]
	v_fma_f64 v[100:101], v[98:99], s[28:29], -v[126:127]
	v_mul_f64 v[92:93], v[92:93], s[16:17]
	v_add_f64 v[136:137], v[136:137], v[142:143]
	v_add_f64 v[134:135], v[134:135], v[140:141]
	;; [unrolled: 1-line block ×3, first 2 shown]
	v_fma_f64 v[130:131], s[28:29], v[98:99], v[126:127]
	v_add_f64 v[126:127], v[100:101], v[128:129]
	v_fma_f64 v[100:101], v[10:11], s[0:1], -v[92:93]
	v_mul_f64 v[4:5], v[4:5], s[16:17]
	v_add_f64 v[130:131], v[130:131], v[136:137]
	v_add_f64 v[128:129], v[100:101], v[134:135]
	v_fma_f64 v[100:101], s[0:1], v[98:99], v[4:5]
	v_fma_f64 v[4:5], v[98:99], s[0:1], -v[4:5]
	v_add_f64 v[136:137], v[84:85], -v[86:87]
	v_add_f64 v[144:145], v[144:145], v[156:157]
	v_add_f64 v[4:5], v[4:5], v[8:9]
	;; [unrolled: 1-line block ×3, first 2 shown]
	v_add_f64 v[134:135], v[88:89], -v[90:91]
	v_mul_f64 v[88:89], v[136:137], s[30:31]
	v_add_f64 v[138:139], v[138:139], v[144:145]
	v_fmac_f64_e32 v[92:93], s[0:1], v[10:11]
	v_add_f64 v[10:11], v[84:85], v[86:87]
	v_fma_f64 v[84:85], v[8:9], s[28:29], -v[88:89]
	v_mul_f64 v[90:91], v[134:135], s[30:31]
	v_fmac_f64_e32 v[88:89], s[28:29], v[8:9]
	v_add_f64 v[120:121], v[120:121], v[132:133]
	v_add_f64 v[132:133], v[100:101], v[138:139]
	;; [unrolled: 1-line block ×4, first 2 shown]
	v_fma_f64 v[88:89], v[10:11], s[28:29], -v[90:91]
	v_mul_f64 v[92:93], v[136:137], s[34:35]
	v_fma_f64 v[86:87], s[28:29], v[10:11], v[90:91]
	v_add_f64 v[102:103], v[88:89], v[102:103]
	v_fma_f64 v[88:89], v[8:9], s[22:23], -v[92:93]
	v_mul_f64 v[94:95], v[134:135], s[34:35]
	v_fmac_f64_e32 v[92:93], s[22:23], v[8:9]
	v_add_f64 v[84:85], v[84:85], v[96:97]
	v_add_f64 v[86:87], v[86:87], v[104:105]
	;; [unrolled: 1-line block ×3, first 2 shown]
	v_fma_f64 v[92:93], v[10:11], s[22:23], -v[94:95]
	v_mul_f64 v[96:97], v[136:137], s[26:27]
	v_add_f64 v[88:89], v[88:89], v[106:107]
	v_add_f64 v[106:107], v[92:93], v[108:109]
	v_fma_f64 v[92:93], v[8:9], s[24:25], -v[96:97]
	v_mul_f64 v[98:99], v[134:135], s[26:27]
	v_fmac_f64_e32 v[96:97], s[24:25], v[8:9]
	v_fma_f64 v[90:91], s[22:23], v[10:11], v[94:95]
	v_add_f64 v[92:93], v[92:93], v[112:113]
	v_add_f64 v[112:113], v[96:97], v[116:117]
	v_fma_f64 v[96:97], v[10:11], s[24:25], -v[98:99]
	v_mul_f64 v[108:109], v[136:137], s[16:17]
	v_add_f64 v[90:91], v[90:91], v[114:115]
	v_add_f64 v[114:115], v[96:97], v[118:119]
	v_fma_f64 v[96:97], v[8:9], s[0:1], -v[108:109]
	v_mul_f64 v[110:111], v[134:135], s[16:17]
	v_fmac_f64_e32 v[108:109], s[0:1], v[8:9]
	v_fma_f64 v[94:95], s[24:25], v[10:11], v[98:99]
	v_add_f64 v[96:97], v[96:97], v[120:121]
	v_add_f64 v[116:117], v[108:109], v[124:125]
	v_fma_f64 v[108:109], v[10:11], s[0:1], -v[110:111]
	v_mul_f64 v[120:121], v[136:137], s[18:19]
	v_add_f64 v[94:95], v[94:95], v[122:123]
	v_add_f64 v[118:119], v[108:109], v[126:127]
	v_fma_f64 v[108:109], v[8:9], s[6:7], -v[120:121]
	v_mul_f64 v[122:123], v[134:135], s[18:19]
	v_fmac_f64_e32 v[120:121], s[6:7], v[8:9]
	v_fma_f64 v[98:99], s[0:1], v[10:11], v[110:111]
	v_fma_f64 v[110:111], s[6:7], v[10:11], v[122:123]
	v_add_f64 v[120:121], v[120:121], v[6:7]
	v_fma_f64 v[6:7], v[10:11], s[6:7], -v[122:123]
	v_add_f64 v[98:99], v[98:99], v[130:131]
	v_add_f64 v[108:109], v[108:109], v[128:129]
	;; [unrolled: 1-line block ×4, first 2 shown]
	ds_write_b128 v153, v[80:83]
	ds_write_b128 v153, v[84:87] offset:624
	ds_write_b128 v153, v[88:91] offset:1248
	;; [unrolled: 1-line block ×10, first 2 shown]
	s_waitcnt lgkmcnt(0)
	s_barrier
	s_and_saveexec_b64 s[6:7], s[4:5]
	s_cbranch_execz .LBB0_13
; %bb.12:
	v_accvgpr_read_b32 v0, a4
	v_mov_b32_e32 v1, 0
	v_lshl_add_u64 v[144:145], s[12:13], 0, v[0:1]
	s_mov_b64 s[0:1], 0x1ad0
	v_lshl_add_u64 v[146:147], v[144:145], 0, s[0:1]
	s_movk_i32 s0, 0x2000
	v_add_co_u32_e64 v162, s[0:1], s0, v144
	v_add_co_u32_e32 v148, vcc, 0x1000, v144
	s_nop 0
	v_addc_co_u32_e64 v163, s[0:1], 0, v145, s[0:1]
	global_load_dwordx4 v[124:127], v[146:147], off offset:528
	global_load_dwordx4 v[128:131], v[146:147], off offset:1056
	;; [unrolled: 1-line block ×7, first 2 shown]
	v_addc_co_u32_e32 v149, vcc, 0, v145, vcc
	global_load_dwordx4 v[148:151], v[148:149], off offset:2768
	s_nop 0
	global_load_dwordx4 v[154:157], v[146:147], off offset:3696
	global_load_dwordx4 v[158:161], v[162:163], off offset:3424
	s_movk_i32 s0, 0x3000
	global_load_dwordx4 v[162:165], v[162:163], off offset:3952
	v_add_co_u32_e32 v166, vcc, s0, v144
	s_nop 1
	v_addc_co_u32_e32 v167, vcc, 0, v145, vcc
	global_load_dwordx4 v[144:147], v[166:167], off offset:384
	s_nop 0
	global_load_dwordx4 v[166:169], v[166:167], off offset:912
	ds_read_b128 v[170:173], v153
	ds_read_b128 v[174:177], v153 offset:528
	ds_read_b128 v[178:181], v153 offset:1056
	;; [unrolled: 1-line block ×9, first 2 shown]
	s_waitcnt vmcnt(12) lgkmcnt(8)
	v_mul_f64 v[210:211], v[176:177], v[126:127]
	v_mul_f64 v[212:213], v[174:175], v[126:127]
	s_waitcnt vmcnt(11) lgkmcnt(7)
	v_mul_f64 v[214:215], v[180:181], v[130:131]
	v_mul_f64 v[126:127], v[178:179], v[130:131]
	;; [unrolled: 3-line block ×7, first 2 shown]
	s_waitcnt vmcnt(5)
	v_mul_f64 v[226:227], v[172:173], v[150:151]
	v_mul_f64 v[10:11], v[170:171], v[150:151]
	v_fma_f64 v[210:211], v[174:175], v[124:125], -v[210:211]
	v_fmac_f64_e32 v[212:213], v[176:177], v[124:125]
	v_fma_f64 v[124:125], v[178:179], v[128:129], -v[214:215]
	v_fmac_f64_e32 v[126:127], v[180:181], v[128:129]
	;; [unrolled: 2-line block ×6, first 2 shown]
	s_waitcnt vmcnt(4)
	v_mul_f64 v[174:175], v[200:201], v[156:157]
	v_mul_f64 v[150:151], v[198:199], v[156:157]
	v_fma_f64 v[4:5], v[202:203], v[8:9], -v[224:225]
	v_fmac_f64_e32 v[6:7], v[204:205], v[8:9]
	v_fma_f64 v[8:9], v[170:171], v[148:149], -v[226:227]
	v_fmac_f64_e32 v[10:11], v[172:173], v[148:149]
	ds_write_b128 v153, v[210:213] offset:528
	ds_write_b128 v153, v[124:127] offset:1056
	;; [unrolled: 1-line block ×6, first 2 shown]
	v_fma_f64 v[148:149], v[198:199], v[154:155], -v[174:175]
	v_fmac_f64_e32 v[150:151], v[200:201], v[154:155]
	ds_write_b128 v153, v[8:11]
	ds_write_b128 v153, v[148:151] offset:3696
	ds_write_b128 v153, v[4:7] offset:4224
	ds_read_b128 v[8:11], v153 offset:5280
	s_waitcnt vmcnt(3) lgkmcnt(10)
	v_mul_f64 v[4:5], v[208:209], v[160:161]
	v_mul_f64 v[6:7], v[206:207], v[160:161]
	v_fma_f64 v[4:5], v[206:207], v[158:159], -v[4:5]
	v_fmac_f64_e32 v[6:7], v[208:209], v[158:159]
	ds_write_b128 v153, v[4:7] offset:4752
	ds_read_b128 v[4:7], v153 offset:5808
	s_waitcnt vmcnt(2) lgkmcnt(2)
	v_mul_f64 v[124:125], v[10:11], v[164:165]
	v_mul_f64 v[126:127], v[8:9], v[164:165]
	v_fma_f64 v[124:125], v[8:9], v[162:163], -v[124:125]
	v_fmac_f64_e32 v[126:127], v[10:11], v[162:163]
	ds_read_b128 v[8:11], v153 offset:6336
	ds_write_b128 v153, v[124:127] offset:5280
	s_waitcnt vmcnt(1) lgkmcnt(2)
	v_mul_f64 v[124:125], v[6:7], v[146:147]
	v_mul_f64 v[126:127], v[4:5], v[146:147]
	v_fma_f64 v[124:125], v[4:5], v[144:145], -v[124:125]
	v_fmac_f64_e32 v[126:127], v[6:7], v[144:145]
	s_waitcnt vmcnt(0) lgkmcnt(1)
	v_mul_f64 v[4:5], v[10:11], v[168:169]
	v_mul_f64 v[6:7], v[8:9], v[168:169]
	v_fma_f64 v[4:5], v[8:9], v[166:167], -v[4:5]
	v_fmac_f64_e32 v[6:7], v[10:11], v[166:167]
	ds_write_b128 v153, v[124:127] offset:5808
	ds_write_b128 v153, v[4:7] offset:6336
.LBB0_13:
	s_or_b64 exec, exec, s[6:7]
	s_waitcnt lgkmcnt(0)
	s_barrier
	s_and_saveexec_b64 s[0:1], s[4:5]
	s_cbranch_execz .LBB0_15
; %bb.14:
	ds_read_b128 v[80:83], v153
	ds_read_b128 v[84:87], v153 offset:528
	ds_read_b128 v[88:91], v153 offset:1056
	ds_read_b128 v[92:95], v153 offset:1584
	ds_read_b128 v[96:99], v153 offset:2112
	ds_read_b128 v[108:111], v153 offset:2640
	ds_read_b128 v[120:123], v153 offset:3168
	ds_read_b128 v[116:119], v153 offset:3696
	ds_read_b128 v[112:115], v153 offset:4224
	ds_read_b128 v[104:107], v153 offset:4752
	ds_read_b128 v[100:103], v153 offset:5280
	ds_read_b128 v[76:79], v153 offset:5808
	ds_read_b128 v[248:251], v153 offset:6336
.LBB0_15:
	s_or_b64 exec, exec, s[0:1]
	s_mov_b32 s6, 0xebaa3ed8
	s_waitcnt lgkmcnt(0)
	v_add_f64 v[156:157], v[86:87], v[250:251]
	s_mov_b32 s7, 0x3fbedb7d
	s_mov_b32 s20, 0x66966769
	;; [unrolled: 1-line block ×3, first 2 shown]
	v_add_f64 v[162:163], v[84:85], -v[248:249]
	v_add_f64 v[158:159], v[86:87], -v[250:251]
	s_mov_b32 s21, 0xbfefc445
	v_mul_f64 v[146:147], v[156:157], s[6:7]
	s_mov_b32 s18, 0xb2365da1
	s_mov_b32 s25, 0xbfedeba7
	v_add_f64 v[154:155], v[84:85], v[248:249]
	s_mov_b32 s16, 0x42a4c3d2
	v_fma_f64 v[10:11], s[20:21], v[162:163], v[146:147]
	s_mov_b32 s19, 0xbfd6b1d8
	v_mul_f64 v[186:187], v[158:159], s[24:25]
	s_mov_b32 s0, 0x1ea71119
	s_mov_b32 s17, 0xbfea55e2
	v_add_f64 v[124:125], v[82:83], v[10:11]
	v_mul_f64 v[202:203], v[156:157], s[18:19]
	v_fma_f64 v[10:11], v[154:155], s[18:19], -v[186:187]
	s_mov_b32 s1, 0x3fe22d96
	v_mul_f64 v[0:1], v[158:159], s[16:17]
	v_add_f64 v[126:127], v[80:81], v[10:11]
	v_fma_f64 v[10:11], s[24:25], v[162:163], v[202:203]
	v_add_f64 v[168:169], v[90:91], -v[78:79]
	v_mul_f64 v[2:3], v[156:157], s[0:1]
	v_fma_f64 v[4:5], v[154:155], s[0:1], -v[0:1]
	v_add_f64 v[128:129], v[82:83], v[10:11]
	v_add_f64 v[160:161], v[88:89], v[76:77]
	;; [unrolled: 1-line block ×3, first 2 shown]
	v_mul_f64 v[10:11], v[168:169], s[24:25]
	s_mov_b32 s30, 0x4bc48dbf
	v_add_f64 v[4:5], v[80:81], v[4:5]
	v_fma_f64 v[6:7], s[16:17], v[162:163], v[2:3]
	v_mul_f64 v[140:141], v[158:159], s[20:21]
	v_add_f64 v[174:175], v[88:89], -v[76:77]
	v_mul_f64 v[144:145], v[164:165], s[18:19]
	v_fma_f64 v[130:131], v[160:161], s[18:19], -v[10:11]
	s_mov_b32 s22, 0x93053d00
	s_mov_b32 s31, 0xbfcea1e5
	v_add_f64 v[6:7], v[82:83], v[6:7]
	v_fma_f64 v[8:9], v[154:155], s[6:7], -v[140:141]
	v_add_f64 v[4:5], v[130:131], v[4:5]
	v_fma_f64 v[130:131], s[24:25], v[174:175], v[144:145]
	s_mov_b32 s23, 0xbfef11f4
	v_mul_f64 v[182:183], v[168:169], s[30:31]
	s_mov_b32 s40, 0x24c2f84
	v_add_f64 v[8:9], v[80:81], v[8:9]
	v_add_f64 v[6:7], v[130:131], v[6:7]
	v_mul_f64 v[200:201], v[164:165], s[22:23]
	v_fma_f64 v[130:131], v[160:161], s[22:23], -v[182:183]
	s_mov_b32 s26, 0xd0032e0c
	s_mov_b32 s41, 0x3fe5384d
	v_add_f64 v[8:9], v[130:131], v[8:9]
	v_fma_f64 v[130:131], s[30:31], v[174:175], v[200:201]
	s_mov_b32 s27, 0xbfe7f3cc
	v_mul_f64 v[226:227], v[168:169], s[40:41]
	v_add_f64 v[124:125], v[130:131], v[124:125]
	v_mul_f64 v[242:243], v[164:165], s[26:27]
	v_fma_f64 v[130:131], v[160:161], s[26:27], -v[226:227]
	v_add_f64 v[184:185], v[94:95], -v[102:103]
	v_add_f64 v[126:127], v[130:131], v[126:127]
	v_fma_f64 v[130:131], s[40:41], v[174:175], v[242:243]
	v_add_f64 v[170:171], v[92:93], v[100:101]
	v_add_f64 v[176:177], v[94:95], v[102:103]
	v_mul_f64 v[178:179], v[184:185], s[30:31]
	v_add_f64 v[128:129], v[130:131], v[128:129]
	v_add_f64 v[192:193], v[92:93], -v[100:101]
	v_mul_f64 v[188:189], v[176:177], s[22:23]
	v_fma_f64 v[130:131], v[170:171], s[22:23], -v[178:179]
	s_mov_b32 s43, 0x3fedeba7
	s_mov_b32 s42, s24
	v_add_f64 v[4:5], v[130:131], v[4:5]
	v_fma_f64 v[130:131], s[30:31], v[192:193], v[188:189]
	v_mul_f64 v[208:209], v[184:185], s[42:43]
	v_add_f64 v[6:7], v[130:131], v[6:7]
	v_mul_f64 v[218:219], v[176:177], s[18:19]
	v_fma_f64 v[130:131], v[170:171], s[18:19], -v[208:209]
	s_mov_b32 s34, 0xe00740e9
	s_mov_b32 s37, 0x3fddbe06
	;; [unrolled: 1-line block ×3, first 2 shown]
	v_add_f64 v[8:9], v[130:131], v[8:9]
	v_fma_f64 v[130:131], s[42:43], v[192:193], v[218:219]
	s_mov_b32 s35, 0x3fec55a7
	v_mul_f64 v[244:245], v[184:185], s[36:37]
	v_add_f64 v[124:125], v[130:131], v[124:125]
	v_mul_f64 v[148:149], v[176:177], s[34:35]
	v_fma_f64 v[130:131], v[170:171], s[34:35], -v[244:245]
	v_add_f64 v[196:197], v[98:99], -v[106:107]
	v_add_f64 v[126:127], v[130:131], v[126:127]
	v_fma_f64 v[130:131], s[36:37], v[192:193], v[148:149]
	v_add_f64 v[180:181], v[96:97], v[104:105]
	v_add_f64 v[190:191], v[98:99], v[106:107]
	v_mul_f64 v[204:205], v[196:197], s[40:41]
	v_add_f64 v[128:129], v[130:131], v[128:129]
	v_add_f64 v[212:213], v[96:97], -v[104:105]
	v_mul_f64 v[210:211], v[190:191], s[26:27]
	v_fma_f64 v[130:131], v[180:181], s[26:27], -v[204:205]
	v_add_f64 v[4:5], v[130:131], v[4:5]
	v_fma_f64 v[130:131], s[40:41], v[212:213], v[210:211]
	v_mul_f64 v[236:237], v[196:197], s[36:37]
	v_add_f64 v[6:7], v[130:131], v[6:7]
	v_mul_f64 v[246:247], v[190:191], s[34:35]
	v_fma_f64 v[130:131], v[180:181], s[34:35], -v[236:237]
	v_add_f64 v[8:9], v[130:131], v[8:9]
	v_fma_f64 v[130:131], s[36:37], v[212:213], v[246:247]
	v_mul_f64 v[254:255], v[196:197], s[20:21]
	v_add_f64 v[124:125], v[130:131], v[124:125]
	v_mul_f64 v[172:173], v[190:191], s[6:7]
	v_fma_f64 v[130:131], v[180:181], s[6:7], -v[254:255]
	v_add_f64 v[214:215], v[110:111], -v[114:115]
	s_mov_b32 s45, 0x3fefc445
	s_mov_b32 s44, s20
	v_add_f64 v[126:127], v[130:131], v[126:127]
	v_fma_f64 v[130:131], s[20:21], v[212:213], v[172:173]
	v_add_f64 v[194:195], v[108:109], v[112:113]
	v_add_f64 v[198:199], v[110:111], v[114:115]
	v_mul_f64 v[234:235], v[214:215], s[44:45]
	v_add_f64 v[128:129], v[130:131], v[128:129]
	v_add_f64 v[224:225], v[108:109], -v[112:113]
	v_mul_f64 v[240:241], v[198:199], s[6:7]
	v_fma_f64 v[130:131], v[194:195], s[6:7], -v[234:235]
	v_add_f64 v[4:5], v[130:131], v[4:5]
	v_fma_f64 v[130:131], s[44:45], v[224:225], v[240:241]
	v_mul_f64 v[232:233], v[214:215], s[16:17]
	v_add_f64 v[130:131], v[130:131], v[6:7]
	v_mul_f64 v[150:151], v[198:199], s[0:1]
	v_fma_f64 v[6:7], v[194:195], s[0:1], -v[232:233]
	s_mov_b32 s47, 0x3fcea1e5
	s_mov_b32 s46, s30
	v_add_f64 v[8:9], v[6:7], v[8:9]
	v_fma_f64 v[6:7], s[16:17], v[224:225], v[150:151]
	v_mul_f64 v[138:139], v[214:215], s[46:47]
	v_add_f64 v[124:125], v[6:7], v[124:125]
	v_mul_f64 v[6:7], v[198:199], s[22:23]
	v_fma_f64 v[132:133], v[194:195], s[22:23], -v[138:139]
	v_add_f64 v[228:229], v[122:123], -v[118:119]
	v_add_f64 v[126:127], v[132:133], v[126:127]
	v_fma_f64 v[132:133], s[46:47], v[224:225], v[6:7]
	v_add_f64 v[206:207], v[120:121], v[116:117]
	v_add_f64 v[216:217], v[122:123], v[118:119]
	v_mul_f64 v[230:231], v[228:229], s[36:37]
	v_add_f64 v[142:143], v[132:133], v[128:129]
	v_add_f64 v[238:239], v[120:121], -v[116:117]
	v_mul_f64 v[252:253], v[216:217], s[34:35]
	v_fma_f64 v[128:129], v[206:207], s[34:35], -v[230:231]
	s_mov_b32 s39, 0xbfe5384d
	s_mov_b32 s38, s40
	v_add_f64 v[128:129], v[128:129], v[4:5]
	v_fma_f64 v[4:5], s[36:37], v[238:239], v[252:253]
	v_mul_f64 v[136:137], v[228:229], s[38:39]
	v_add_f64 v[130:131], v[4:5], v[130:131]
	v_mul_f64 v[166:167], v[216:217], s[26:27]
	v_fma_f64 v[4:5], v[206:207], s[26:27], -v[136:137]
	v_add_f64 v[132:133], v[4:5], v[8:9]
	v_fma_f64 v[4:5], s[38:39], v[238:239], v[166:167]
	s_mov_b32 s48, s16
	v_add_f64 v[134:135], v[4:5], v[124:125]
	v_mul_f64 v[4:5], v[228:229], s[48:49]
	v_mul_f64 v[8:9], v[216:217], s[0:1]
	v_fma_f64 v[124:125], v[206:207], s[0:1], -v[4:5]
	v_add_f64 v[124:125], v[124:125], v[126:127]
	v_fma_f64 v[126:127], s[48:49], v[238:239], v[8:9]
	v_add_f64 v[126:127], v[126:127], v[142:143]
	s_barrier
	s_and_saveexec_b64 s[28:29], s[4:5]
	s_cbranch_execz .LBB0_17
; %bb.16:
	v_mul_f64 v[142:143], v[154:155], s[0:1]
	v_accvgpr_write_b32 a26, v142
	v_accvgpr_write_b32 a27, v143
	v_mul_f64 v[142:143], v[162:163], s[16:17]
	v_accvgpr_write_b32 a30, v142
	v_accvgpr_write_b32 a31, v143
	v_mul_f64 v[142:143], v[154:155], s[6:7]
	v_accvgpr_write_b32 a34, v142
	v_accvgpr_write_b32 a35, v143
	v_mul_f64 v[142:143], v[162:163], s[20:21]
	v_accvgpr_write_b32 a44, v142
	v_accvgpr_write_b32 a45, v143
	v_mul_f64 v[142:143], v[154:155], s[18:19]
	v_accvgpr_write_b32 a52, v142
	v_accvgpr_write_b32 a53, v143
	v_mul_f64 v[142:143], v[162:163], s[24:25]
	v_accvgpr_write_b32 a66, v142
	v_accvgpr_write_b32 a67, v143
	v_mul_f64 v[142:143], v[160:161], s[18:19]
	v_accvgpr_write_b32 a28, v142
	v_accvgpr_write_b32 a29, v143
	v_mul_f64 v[142:143], v[174:175], s[24:25]
	v_accvgpr_write_b32 a32, v142
	v_accvgpr_write_b32 a33, v143
	v_mul_f64 v[142:143], v[160:161], s[22:23]
	v_accvgpr_write_b32 a51, v3
	v_accvgpr_write_b32 a36, v142
	v_accvgpr_write_b32 a64, v200
	v_accvgpr_write_b32 a50, v2
	v_mul_f64 v[2:3], v[162:163], s[30:31]
	v_accvgpr_write_b32 a37, v143
	v_accvgpr_write_b32 a41, v11
	;; [unrolled: 1-line block ×3, first 2 shown]
	v_mul_f64 v[200:201], v[174:175], s[36:37]
	v_accvgpr_write_b32 a43, v1
	v_fma_f64 v[142:143], s[22:23], v[156:157], v[2:3]
	v_accvgpr_write_b32 a72, v218
	v_accvgpr_write_b32 a38, v178
	;; [unrolled: 1-line block ×3, first 2 shown]
	v_mul_f64 v[10:11], v[192:193], s[38:39]
	v_accvgpr_write_b32 a58, v140
	v_accvgpr_write_b32 a42, v0
	v_fma_f64 v[0:1], s[34:35], v[164:165], v[200:201]
	v_add_f64 v[142:143], v[82:83], v[142:143]
	v_accvgpr_write_b32 a70, v208
	v_accvgpr_write_b32 a73, v219
	v_mul_f64 v[218:219], v[158:159], s[30:31]
	v_accvgpr_write_b32 a68, v186
	v_accvgpr_write_b32 a39, v179
	v_mul_f64 v[178:179], v[212:213], s[48:49]
	v_accvgpr_write_b32 a56, v182
	v_accvgpr_write_b32 a59, v141
	v_fma_f64 v[140:141], s[26:27], v[176:177], v[10:11]
	v_add_f64 v[0:1], v[0:1], v[142:143]
	v_accvgpr_write_b32 a74, v202
	v_accvgpr_write_b32 a71, v209
	v_mul_f64 v[208:209], v[168:169], s[36:37]
	v_accvgpr_write_b32 a62, v210
	v_fma_f64 v[220:221], v[154:155], s[22:23], -v[218:219]
	v_accvgpr_write_b32 a46, v144
	v_accvgpr_write_b32 a69, v187
	v_mul_f64 v[186:187], v[224:225], s[24:25]
	v_accvgpr_write_b32 a48, v188
	v_accvgpr_write_b32 a57, v183
	v_fma_f64 v[182:183], s[0:1], v[190:191], v[178:179]
	v_add_f64 v[0:1], v[140:141], v[0:1]
	v_accvgpr_write_b32 a75, v203
	v_mul_f64 v[202:203], v[184:185], s[38:39]
	v_accvgpr_write_b32 a54, v204
	v_accvgpr_write_b32 a63, v211
	v_fma_f64 v[210:211], v[160:161], s[34:35], -v[208:209]
	v_add_f64 v[220:221], v[80:81], v[220:221]
	v_accvgpr_write_b32 a47, v145
	v_mul_f64 v[144:145], v[238:239], s[44:45]
	v_accvgpr_write_b32 a60, v146
	v_accvgpr_write_b32 a49, v189
	v_fma_f64 v[188:189], s[18:19], v[198:199], v[186:187]
	v_add_f64 v[0:1], v[182:183], v[0:1]
	v_mul_f64 v[182:183], v[196:197], s[48:49]
	v_accvgpr_write_b32 a55, v205
	v_fma_f64 v[204:205], v[170:171], s[26:27], -v[202:203]
	v_add_f64 v[210:211], v[210:211], v[220:221]
	v_accvgpr_write_b32 a61, v147
	v_fma_f64 v[146:147], s[6:7], v[216:217], v[144:145]
	v_add_f64 v[0:1], v[188:189], v[0:1]
	v_mul_f64 v[142:143], v[214:215], s[24:25]
	v_fma_f64 v[188:189], v[180:181], s[0:1], -v[182:183]
	v_add_f64 v[204:205], v[204:205], v[210:211]
	v_add_f64 v[222:223], v[146:147], v[0:1]
	v_mul_f64 v[0:1], v[228:229], s[44:45]
	v_fma_f64 v[146:147], v[194:195], s[18:19], -v[142:143]
	v_add_f64 v[188:189], v[188:189], v[204:205]
	v_fma_f64 v[140:141], v[206:207], s[6:7], -v[0:1]
	v_add_f64 v[146:147], v[146:147], v[188:189]
	v_fma_f64 v[2:3], v[156:157], s[22:23], -v[2:3]
	v_add_f64 v[220:221], v[140:141], v[146:147]
	v_fma_f64 v[146:147], v[190:191], s[0:1], -v[178:179]
	v_fma_f64 v[178:179], v[164:165], s[34:35], -v[200:201]
	v_add_f64 v[2:3], v[82:83], v[2:3]
	v_fma_f64 v[10:11], v[176:177], s[26:27], -v[10:11]
	v_add_f64 v[2:3], v[178:179], v[2:3]
	v_add_f64 v[2:3], v[10:11], v[2:3]
	v_fma_f64 v[140:141], v[216:217], s[6:7], -v[144:145]
	v_fma_f64 v[144:145], v[198:199], s[18:19], -v[186:187]
	v_add_f64 v[2:3], v[146:147], v[2:3]
	v_add_f64 v[2:3], v[144:145], v[2:3]
	v_fmac_f64_e32 v[218:219], s[22:23], v[154:155]
	v_add_f64 v[144:145], v[140:141], v[2:3]
	v_fmac_f64_e32 v[208:209], s[34:35], v[160:161]
	;; [unrolled: 2-line block ×6, first 2 shown]
	v_add_f64 v[2:3], v[142:143], v[2:3]
	v_mul_f64 v[188:189], v[162:163], s[38:39]
	v_add_f64 v[142:143], v[0:1], v[2:3]
	v_mul_f64 v[182:183], v[174:175], s[44:45]
	v_fma_f64 v[200:201], s[26:27], v[156:157], v[188:189]
	v_accvgpr_write_b32 a22, v142
	v_mul_f64 v[178:179], v[192:193], s[16:17]
	v_fma_f64 v[186:187], s[6:7], v[164:165], v[182:183]
	v_add_f64 v[200:201], v[82:83], v[200:201]
	v_accvgpr_write_b32 a23, v143
	v_accvgpr_write_b32 a24, v144
	;; [unrolled: 1-line block ×3, first 2 shown]
	v_mul_f64 v[142:143], v[212:213], s[46:47]
	v_fma_f64 v[146:147], s[0:1], v[176:177], v[178:179]
	v_add_f64 v[186:187], v[186:187], v[200:201]
	v_mul_f64 v[10:11], v[224:225], s[36:37]
	v_fma_f64 v[144:145], s[22:23], v[190:191], v[142:143]
	v_add_f64 v[146:147], v[146:147], v[186:187]
	v_mul_f64 v[204:205], v[158:159], s[38:39]
	v_fma_f64 v[188:189], v[156:157], s[26:27], -v[188:189]
	v_fma_f64 v[140:141], s[34:35], v[198:199], v[10:11]
	v_add_f64 v[144:145], v[144:145], v[146:147]
	v_mul_f64 v[202:203], v[168:169], s[44:45]
	v_fma_f64 v[208:209], v[154:155], s[26:27], -v[204:205]
	v_fma_f64 v[182:183], v[164:165], s[6:7], -v[182:183]
	v_add_f64 v[188:189], v[82:83], v[188:189]
	v_fmac_f64_e32 v[204:205], s[26:27], v[154:155]
	v_mul_f64 v[0:1], v[238:239], s[24:25]
	v_add_f64 v[140:141], v[140:141], v[144:145]
	v_mul_f64 v[200:201], v[184:185], s[16:17]
	v_fma_f64 v[144:145], v[160:161], s[6:7], -v[202:203]
	v_add_f64 v[208:209], v[80:81], v[208:209]
	v_add_f64 v[182:183], v[182:183], v[188:189]
	v_fmac_f64_e32 v[202:203], s[6:7], v[160:161]
	v_add_f64 v[188:189], v[80:81], v[204:205]
	v_fma_f64 v[2:3], s[18:19], v[216:217], v[0:1]
	v_mul_f64 v[186:187], v[196:197], s[46:47]
	v_add_f64 v[144:145], v[144:145], v[208:209]
	v_fma_f64 v[208:209], v[170:171], s[0:1], -v[200:201]
	v_add_f64 v[188:189], v[202:203], v[188:189]
	v_fmac_f64_e32 v[200:201], s[0:1], v[170:171]
	v_add_f64 v[146:147], v[2:3], v[140:141]
	v_mul_f64 v[140:141], v[214:215], s[36:37]
	v_add_f64 v[144:145], v[208:209], v[144:145]
	v_fma_f64 v[208:209], v[180:181], s[22:23], -v[186:187]
	v_add_f64 v[188:189], v[200:201], v[188:189]
	v_fmac_f64_e32 v[186:187], s[22:23], v[180:181]
	v_mul_f64 v[2:3], v[228:229], s[24:25]
	v_add_f64 v[144:145], v[208:209], v[144:145]
	v_fma_f64 v[208:209], v[194:195], s[34:35], -v[140:141]
	v_add_f64 v[186:187], v[186:187], v[188:189]
	v_fmac_f64_e32 v[140:141], s[34:35], v[194:195]
	v_add_f64 v[144:145], v[208:209], v[144:145]
	v_fma_f64 v[208:209], v[206:207], s[18:19], -v[2:3]
	v_add_f64 v[140:141], v[140:141], v[186:187]
	v_fmac_f64_e32 v[2:3], s[18:19], v[206:207]
	v_add_f64 v[186:187], v[2:3], v[140:141]
	v_mul_f64 v[2:3], v[238:239], s[48:49]
	v_add_f64 v[2:3], v[8:9], -v[2:3]
	v_mul_f64 v[8:9], v[224:225], s[46:47]
	v_accvgpr_write_b32 a18, v220
	v_mul_f64 v[218:219], v[174:175], s[40:41]
	v_add_f64 v[6:7], v[6:7], -v[8:9]
	v_mul_f64 v[8:9], v[212:213], s[20:21]
	v_accvgpr_write_b32 a19, v221
	v_accvgpr_write_b32 a20, v222
	;; [unrolled: 1-line block ×3, first 2 shown]
	v_add_f64 v[8:9], v[172:173], -v[8:9]
	v_add_f64 v[172:173], v[242:243], -v[218:219]
	v_accvgpr_read_b32 v219, a67
	v_accvgpr_read_b32 v223, a75
	;; [unrolled: 1-line block ×4, first 2 shown]
	v_add_f64 v[218:219], v[222:223], -v[218:219]
	v_mul_f64 v[204:205], v[192:193], s[36:37]
	v_add_f64 v[218:219], v[82:83], v[218:219]
	v_add_f64 v[140:141], v[148:149], -v[204:205]
	v_add_f64 v[172:173], v[172:173], v[218:219]
	v_add_f64 v[140:141], v[140:141], v[172:173]
	;; [unrolled: 1-line block ×4, first 2 shown]
	v_mul_f64 v[8:9], v[206:207], s[0:1]
	v_mul_f64 v[204:205], v[180:181], s[6:7]
	v_add_f64 v[4:5], v[8:9], v[4:5]
	v_mul_f64 v[8:9], v[194:195], s[22:23]
	v_add_f64 v[8:9], v[8:9], v[138:139]
	v_add_f64 v[138:139], v[204:205], v[254:255]
	;; [unrolled: 1-line block ×3, first 2 shown]
	v_accvgpr_read_b32 v2, a52
	v_accvgpr_read_b32 v255, a69
	;; [unrolled: 1-line block ×4, first 2 shown]
	v_mul_f64 v[210:211], v[160:161], s[26:27]
	v_add_f64 v[2:3], v[2:3], v[254:255]
	v_mul_f64 v[200:201], v[170:171], s[34:35]
	v_add_f64 v[210:211], v[210:211], v[226:227]
	v_add_f64 v[2:3], v[80:81], v[2:3]
	;; [unrolled: 1-line block ×6, first 2 shown]
	v_mul_f64 v[140:141], v[224:225], s[16:17]
	v_mul_f64 v[226:227], v[238:239], s[38:39]
	v_add_f64 v[2:3], v[8:9], v[2:3]
	v_mul_f64 v[148:149], v[212:213], s[36:37]
	v_add_f64 v[4:5], v[4:5], v[2:3]
	v_add_f64 v[2:3], v[166:167], -v[226:227]
	v_add_f64 v[8:9], v[150:151], -v[140:141]
	v_accvgpr_read_b32 v151, a45
	v_accvgpr_read_b32 v167, a61
	v_add_f64 v[138:139], v[246:247], -v[148:149]
	v_accvgpr_read_b32 v149, a65
	v_accvgpr_read_b32 v150, a44
	;; [unrolled: 1-line block ×3, first 2 shown]
	v_add_f64 v[144:145], v[208:209], v[144:145]
	v_mul_f64 v[208:209], v[174:175], s[30:31]
	v_accvgpr_read_b32 v141, a73
	v_accvgpr_read_b32 v148, a64
	v_add_f64 v[150:151], v[166:167], -v[150:151]
	v_mul_f64 v[202:203], v[192:193], s[42:43]
	v_accvgpr_read_b32 v140, a72
	v_add_f64 v[148:149], v[148:149], -v[208:209]
	v_add_f64 v[150:151], v[82:83], v[150:151]
	v_add_f64 v[140:141], v[140:141], -v[202:203]
	v_add_f64 v[148:149], v[148:149], v[150:151]
	v_add_f64 v[140:141], v[140:141], v[148:149]
	v_fma_f64 v[178:179], v[176:177], s[0:1], -v[178:179]
	v_add_f64 v[138:139], v[138:139], v[140:141]
	v_add_f64 v[178:179], v[178:179], v[182:183]
	v_fma_f64 v[142:143], v[190:191], s[22:23], -v[142:143]
	v_mul_f64 v[244:245], v[206:207], s[26:27]
	v_add_f64 v[8:9], v[8:9], v[138:139]
	v_add_f64 v[142:143], v[142:143], v[178:179]
	v_fma_f64 v[10:11], v[198:199], s[34:35], -v[10:11]
	v_add_f64 v[138:139], v[2:3], v[8:9]
	v_add_f64 v[2:3], v[244:245], v[136:137]
	v_accvgpr_read_b32 v137, a71
	v_add_f64 v[10:11], v[10:11], v[142:143]
	v_mul_f64 v[142:143], v[170:171], s[18:19]
	v_accvgpr_read_b32 v136, a70
	v_add_f64 v[136:137], v[142:143], v[136:137]
	v_accvgpr_read_b32 v141, a37
	v_accvgpr_read_b32 v143, a57
	;; [unrolled: 1-line block ×4, first 2 shown]
	v_add_f64 v[140:141], v[140:141], v[142:143]
	v_accvgpr_read_b32 v143, a35
	v_accvgpr_read_b32 v149, a59
	;; [unrolled: 1-line block ×4, first 2 shown]
	v_add_f64 v[142:143], v[142:143], v[148:149]
	v_add_f64 v[142:143], v[80:81], v[142:143]
	;; [unrolled: 1-line block ×3, first 2 shown]
	v_fma_f64 v[0:1], v[216:217], s[18:19], -v[0:1]
	v_add_f64 v[136:137], v[136:137], v[140:141]
	v_accvgpr_read_b32 v141, a33
	v_accvgpr_read_b32 v143, a47
	v_add_f64 v[188:189], v[0:1], v[10:11]
	v_mul_f64 v[10:11], v[180:181], s[34:35]
	v_accvgpr_read_b32 v140, a32
	v_accvgpr_read_b32 v142, a46
	v_mul_f64 v[172:173], v[194:195], s[0:1]
	v_add_f64 v[10:11], v[10:11], v[236:237]
	v_add_f64 v[140:141], v[142:143], -v[140:141]
	v_accvgpr_read_b32 v143, a31
	v_accvgpr_read_b32 v149, a51
	v_add_f64 v[8:9], v[172:173], v[232:233]
	v_add_f64 v[10:11], v[10:11], v[136:137]
	v_accvgpr_read_b32 v142, a30
	v_accvgpr_read_b32 v148, a50
	v_add_f64 v[8:9], v[8:9], v[10:11]
	v_accvgpr_read_b32 v10, a62
	v_add_f64 v[142:143], v[148:149], -v[142:143]
	v_mul_f64 v[0:1], v[212:213], s[40:41]
	v_accvgpr_read_b32 v11, a63
	v_add_f64 v[142:143], v[82:83], v[142:143]
	v_add_f64 v[0:1], v[10:11], -v[0:1]
	v_accvgpr_read_b32 v10, a48
	v_add_f64 v[140:141], v[140:141], v[142:143]
	v_accvgpr_read_b32 v143, a29
	v_accvgpr_read_b32 v149, a41
	v_mul_f64 v[178:179], v[192:193], s[30:31]
	v_accvgpr_read_b32 v11, a49
	v_accvgpr_read_b32 v142, a28
	;; [unrolled: 1-line block ×3, first 2 shown]
	v_add_f64 v[10:11], v[10:11], -v[178:179]
	v_add_f64 v[142:143], v[142:143], v[148:149]
	v_accvgpr_read_b32 v149, a27
	v_accvgpr_read_b32 v151, a43
	v_mul_f64 v[218:219], v[224:225], s[44:45]
	v_add_f64 v[10:11], v[10:11], v[140:141]
	v_accvgpr_read_b32 v148, a26
	v_accvgpr_read_b32 v150, a42
	v_mul_f64 v[204:205], v[238:239], s[36:37]
	v_add_f64 v[136:137], v[2:3], v[8:9]
	v_add_f64 v[8:9], v[240:241], -v[218:219]
	v_add_f64 v[0:1], v[0:1], v[10:11]
	v_accvgpr_read_b32 v141, a39
	v_add_f64 v[148:149], v[148:149], v[150:151]
	s_mov_b32 s37, 0xbfddbe06
	v_mul_f64 v[182:183], v[170:171], s[22:23]
	v_add_f64 v[0:1], v[8:9], v[0:1]
	v_accvgpr_read_b32 v8, a54
	v_accvgpr_read_b32 v140, a38
	v_add_f64 v[148:149], v[80:81], v[148:149]
	v_mul_f64 v[162:163], v[162:163], s[36:37]
	v_mul_f64 v[220:221], v[180:181], s[26:27]
	v_accvgpr_read_b32 v9, a55
	v_add_f64 v[140:141], v[182:183], v[140:141]
	v_add_f64 v[142:143], v[142:143], v[148:149]
	v_mul_f64 v[174:175], v[174:175], s[16:17]
	v_fma_f64 v[182:183], s[34:35], v[156:157], v[162:163]
	v_fma_f64 v[156:157], v[156:157], s[34:35], -v[162:163]
	v_mul_f64 v[242:243], v[194:195], s[6:7]
	v_add_f64 v[2:3], v[252:253], -v[204:205]
	v_add_f64 v[8:9], v[220:221], v[8:9]
	v_add_f64 v[140:141], v[140:141], v[142:143]
	v_mul_f64 v[166:167], v[192:193], s[20:21]
	v_fma_f64 v[178:179], s[0:1], v[164:165], v[174:175]
	v_fma_f64 v[164:165], v[164:165], s[0:1], -v[174:175]
	v_add_f64 v[156:157], v[82:83], v[156:157]
	v_mul_f64 v[222:223], v[206:207], s[34:35]
	v_add_f64 v[10:11], v[2:3], v[0:1]
	v_add_f64 v[2:3], v[242:243], v[234:235]
	;; [unrolled: 1-line block ×3, first 2 shown]
	v_mul_f64 v[150:151], v[212:213], s[24:25]
	v_fma_f64 v[172:173], s[6:7], v[176:177], v[166:167]
	v_fma_f64 v[166:167], v[176:177], s[6:7], -v[166:167]
	v_add_f64 v[156:157], v[164:165], v[156:157]
	v_add_f64 v[0:1], v[222:223], v[230:231]
	v_add_f64 v[2:3], v[2:3], v[8:9]
	v_mul_f64 v[148:149], v[224:225], s[38:39]
	v_fma_f64 v[142:143], s[18:19], v[190:191], v[150:151]
	v_fma_f64 v[150:151], v[190:191], s[18:19], -v[150:151]
	v_add_f64 v[156:157], v[166:167], v[156:157]
	v_add_f64 v[8:9], v[0:1], v[2:3]
	v_mul_f64 v[0:1], v[238:239], s[30:31]
	v_fma_f64 v[140:141], s[26:27], v[198:199], v[148:149]
	v_add_f64 v[182:183], v[82:83], v[182:183]
	v_mul_f64 v[158:159], v[158:159], s[36:37]
	v_fma_f64 v[148:149], v[198:199], s[26:27], -v[148:149]
	v_add_f64 v[150:151], v[150:151], v[156:157]
	v_fma_f64 v[2:3], s[22:23], v[216:217], v[0:1]
	v_add_f64 v[178:179], v[178:179], v[182:183]
	v_mul_f64 v[168:169], v[168:169], s[16:17]
	v_fma_f64 v[202:203], v[154:155], s[34:35], -v[158:159]
	v_fma_f64 v[0:1], v[216:217], s[22:23], -v[0:1]
	v_add_f64 v[148:149], v[148:149], v[150:151]
	v_fmac_f64_e32 v[158:159], s[34:35], v[154:155]
	v_add_f64 v[172:173], v[172:173], v[178:179]
	v_mul_f64 v[184:185], v[184:185], s[20:21]
	v_fma_f64 v[200:201], v[160:161], s[0:1], -v[168:169]
	v_add_f64 v[150:151], v[0:1], v[148:149]
	v_fmac_f64_e32 v[168:169], s[0:1], v[160:161]
	v_add_f64 v[0:1], v[80:81], v[158:159]
	v_add_f64 v[142:143], v[142:143], v[172:173]
	v_mul_f64 v[182:183], v[196:197], s[24:25]
	v_fma_f64 v[196:197], v[170:171], s[6:7], -v[184:185]
	v_fmac_f64_e32 v[184:185], s[6:7], v[170:171]
	v_add_f64 v[0:1], v[168:169], v[0:1]
	v_add_f64 v[140:141], v[140:141], v[142:143]
	v_mul_f64 v[172:173], v[214:215], s[38:39]
	v_fma_f64 v[192:193], v[180:181], s[18:19], -v[182:183]
	;; [unrolled: 5-line block ×3, first 2 shown]
	v_fmac_f64_e32 v[172:173], s[26:27], v[194:195]
	v_add_f64 v[0:1], v[182:183], v[0:1]
	v_fma_f64 v[140:141], v[206:207], s[22:23], -v[2:3]
	v_fmac_f64_e32 v[2:3], s[22:23], v[206:207]
	v_add_f64 v[0:1], v[172:173], v[0:1]
	v_add_f64 v[148:149], v[2:3], v[0:1]
	v_add_f64 v[0:1], v[82:83], v[86:87]
	v_add_f64 v[0:1], v[0:1], v[90:91]
	v_add_f64 v[0:1], v[0:1], v[94:95]
	v_add_f64 v[0:1], v[0:1], v[98:99]
	v_add_f64 v[0:1], v[0:1], v[110:111]
	v_add_f64 v[0:1], v[0:1], v[122:123]
	v_add_f64 v[0:1], v[0:1], v[118:119]
	v_add_f64 v[0:1], v[0:1], v[114:115]
	v_add_f64 v[0:1], v[0:1], v[106:107]
	v_add_f64 v[0:1], v[0:1], v[102:103]
	v_add_f64 v[0:1], v[0:1], v[78:79]
	v_add_f64 v[2:3], v[0:1], v[250:251]
	v_add_f64 v[0:1], v[80:81], v[84:85]
	v_add_f64 v[0:1], v[0:1], v[88:89]
	v_add_f64 v[0:1], v[0:1], v[92:93]
	v_add_f64 v[0:1], v[0:1], v[96:97]
	v_add_f64 v[0:1], v[0:1], v[108:109]
	v_add_f64 v[0:1], v[0:1], v[120:121]
	v_add_f64 v[0:1], v[0:1], v[116:117]
	v_add_f64 v[202:203], v[80:81], v[202:203]
	v_add_f64 v[0:1], v[0:1], v[112:113]
	v_add_f64 v[200:201], v[200:201], v[202:203]
	v_add_f64 v[0:1], v[0:1], v[104:105]
	v_add_f64 v[196:197], v[196:197], v[200:201]
	v_add_f64 v[0:1], v[0:1], v[100:101]
	v_add_f64 v[192:193], v[192:193], v[196:197]
	v_add_f64 v[0:1], v[0:1], v[76:77]
	v_accvgpr_read_b32 v76, a1
	v_accvgpr_read_b32 v77, a3
	v_add_f64 v[178:179], v[178:179], v[192:193]
	v_add_f64 v[0:1], v[0:1], v[248:249]
	v_lshl_add_u32 v76, v77, 4, v76
	v_add_f64 v[140:141], v[140:141], v[178:179]
	ds_write_b128 v76, v[0:3]
	ds_write_b128 v76, v[148:151] offset:16
	ds_write_b128 v76, v[8:11] offset:32
	;; [unrolled: 1-line block ×12, first 2 shown]
.LBB0_17:
	s_or_b64 exec, exec, s[28:29]
	s_waitcnt lgkmcnt(0)
	s_barrier
	ds_read_b128 v[80:83], v152
	ds_read_b128 v[76:79], v152 offset:624
	ds_read_b128 v[96:99], v152 offset:4576
	ds_read_b128 v[92:95], v152 offset:5200
	ds_read_b128 v[104:107], v152 offset:2288
	ds_read_b128 v[0:3], v152 offset:1248
	ds_read_b128 v[100:103], v152 offset:2912
	ds_read_b128 v[88:91], v152 offset:3536
	ds_read_b128 v[84:87], v152 offset:5824
	s_and_saveexec_b64 s[0:1], s[2:3]
	s_cbranch_execz .LBB0_19
; %bb.18:
	ds_read_b128 v[124:127], v152 offset:1872
	ds_read_b128 v[132:135], v152 offset:4160
	;; [unrolled: 1-line block ×3, first 2 shown]
.LBB0_19:
	s_or_b64 exec, exec, s[0:1]
	s_waitcnt lgkmcnt(4)
	v_mul_f64 v[10:11], v[18:19], v[106:107]
	v_mul_f64 v[4:5], v[18:19], v[104:105]
	v_fmac_f64_e32 v[10:11], v[16:17], v[104:105]
	v_fma_f64 v[16:17], v[16:17], v[106:107], -v[4:5]
	v_mul_f64 v[18:19], v[14:15], v[98:99]
	v_mul_f64 v[4:5], v[14:15], v[96:97]
	v_fmac_f64_e32 v[18:19], v[12:13], v[96:97]
	v_fma_f64 v[12:13], v[12:13], v[98:99], -v[4:5]
	s_waitcnt lgkmcnt(2)
	v_mul_f64 v[96:97], v[26:27], v[102:103]
	v_mul_f64 v[4:5], v[26:27], v[100:101]
	v_fmac_f64_e32 v[96:97], v[24:25], v[100:101]
	v_fma_f64 v[24:25], v[24:25], v[102:103], -v[4:5]
	v_mul_f64 v[26:27], v[22:23], v[94:95]
	v_mul_f64 v[4:5], v[22:23], v[92:93]
	v_fmac_f64_e32 v[26:27], v[20:21], v[92:93]
	v_fma_f64 v[20:21], v[20:21], v[94:95], -v[4:5]
	s_waitcnt lgkmcnt(1)
	v_mul_f64 v[92:93], v[34:35], v[90:91]
	v_mul_f64 v[4:5], v[34:35], v[88:89]
	v_fmac_f64_e32 v[92:93], v[32:33], v[88:89]
	v_fma_f64 v[32:33], v[32:33], v[90:91], -v[4:5]
	s_waitcnt lgkmcnt(0)
	v_mul_f64 v[34:35], v[30:31], v[86:87]
	v_mul_f64 v[4:5], v[30:31], v[84:85]
	v_add_f64 v[6:7], v[10:11], v[18:19]
	s_mov_b32 s0, 0xe8584caa
	v_fmac_f64_e32 v[34:35], v[28:29], v[84:85]
	v_fma_f64 v[28:29], v[28:29], v[86:87], -v[4:5]
	v_add_f64 v[4:5], v[80:81], v[10:11]
	v_fmac_f64_e32 v[80:81], -0.5, v[6:7]
	v_add_f64 v[6:7], v[16:17], -v[12:13]
	s_mov_b32 s1, 0xbfebb67a
	s_mov_b32 s7, 0x3febb67a
	s_mov_b32 s6, s0
	v_fma_f64 v[8:9], s[0:1], v[6:7], v[80:81]
	v_fmac_f64_e32 v[80:81], s[6:7], v[6:7]
	v_add_f64 v[6:7], v[82:83], v[16:17]
	v_add_f64 v[6:7], v[6:7], v[12:13]
	;; [unrolled: 1-line block ×3, first 2 shown]
	v_fmac_f64_e32 v[82:83], -0.5, v[12:13]
	v_add_f64 v[12:13], v[10:11], -v[18:19]
	v_add_f64 v[14:15], v[96:97], v[26:27]
	v_fma_f64 v[10:11], s[6:7], v[12:13], v[82:83]
	v_fmac_f64_e32 v[82:83], s[0:1], v[12:13]
	v_add_f64 v[12:13], v[76:77], v[96:97]
	v_fmac_f64_e32 v[76:77], -0.5, v[14:15]
	v_add_f64 v[14:15], v[24:25], -v[20:21]
	v_add_f64 v[4:5], v[4:5], v[18:19]
	v_fma_f64 v[16:17], s[0:1], v[14:15], v[76:77]
	v_fmac_f64_e32 v[76:77], s[6:7], v[14:15]
	v_add_f64 v[14:15], v[78:79], v[24:25]
	v_add_f64 v[18:19], v[24:25], v[20:21]
	;; [unrolled: 1-line block ×3, first 2 shown]
	v_fmac_f64_e32 v[78:79], -0.5, v[18:19]
	v_add_f64 v[20:21], v[96:97], -v[26:27]
	v_add_f64 v[22:23], v[92:93], v[34:35]
	v_fma_f64 v[18:19], s[6:7], v[20:21], v[78:79]
	v_fmac_f64_e32 v[78:79], s[0:1], v[20:21]
	v_add_f64 v[20:21], v[0:1], v[92:93]
	v_fmac_f64_e32 v[0:1], -0.5, v[22:23]
	v_add_f64 v[22:23], v[32:33], -v[28:29]
	v_add_f64 v[12:13], v[12:13], v[26:27]
	v_fma_f64 v[24:25], s[0:1], v[22:23], v[0:1]
	v_fmac_f64_e32 v[0:1], s[6:7], v[22:23]
	v_add_f64 v[22:23], v[2:3], v[32:33]
	v_add_f64 v[26:27], v[32:33], v[28:29]
	;; [unrolled: 1-line block ×3, first 2 shown]
	v_fmac_f64_e32 v[2:3], -0.5, v[26:27]
	v_add_f64 v[28:29], v[92:93], -v[34:35]
	v_fma_f64 v[26:27], s[6:7], v[28:29], v[2:3]
	v_fmac_f64_e32 v[2:3], s[0:1], v[28:29]
	v_accvgpr_read_b32 v28, a15
	s_barrier
	ds_write_b128 v28, v[4:7]
	ds_write_b128 v28, v[8:11] offset:208
	ds_write_b128 v28, v[80:83] offset:416
	v_accvgpr_read_b32 v4, a16
	v_add_f64 v[20:21], v[20:21], v[34:35]
	ds_write_b128 v4, v[12:15]
	ds_write_b128 v4, v[16:19] offset:208
	ds_write_b128 v4, v[76:79] offset:416
	v_accvgpr_read_b32 v4, a17
	ds_write_b128 v4, v[20:23]
	ds_write_b128 v4, v[24:27] offset:208
	ds_write_b128 v4, v[0:3] offset:416
	s_and_saveexec_b64 s[16:17], s[2:3]
	s_cbranch_execz .LBB0_21
; %bb.20:
	v_accvgpr_read_b32 v10, a10
	v_accvgpr_read_b32 v12, a12
	;; [unrolled: 1-line block ×5, first 2 shown]
	v_mul_f64 v[0:1], v[12:13], v[132:133]
	v_accvgpr_read_b32 v18, a8
	v_fma_f64 v[4:5], v[10:11], v[134:135], -v[0:1]
	v_accvgpr_read_b32 v17, a7
	v_accvgpr_read_b32 v16, a6
	v_mul_f64 v[0:1], v[18:19], v[128:129]
	v_fma_f64 v[8:9], v[16:17], v[130:131], -v[0:1]
	v_mul_f64 v[12:13], v[12:13], v[134:135]
	v_mul_f64 v[14:15], v[18:19], v[130:131]
	v_add_f64 v[0:1], v[4:5], v[8:9]
	v_fmac_f64_e32 v[12:13], v[10:11], v[132:133]
	v_fmac_f64_e32 v[14:15], v[16:17], v[128:129]
	v_fma_f64 v[2:3], -0.5, v[0:1], v[126:127]
	v_add_f64 v[0:1], v[12:13], -v[14:15]
	v_fma_f64 v[6:7], s[0:1], v[0:1], v[2:3]
	v_fmac_f64_e32 v[2:3], s[6:7], v[0:1]
	v_add_f64 v[0:1], v[126:127], v[4:5]
	v_add_f64 v[10:11], v[0:1], v[8:9]
	;; [unrolled: 1-line block ×3, first 2 shown]
	v_fma_f64 v[0:1], -0.5, v[0:1], v[124:125]
	v_add_f64 v[8:9], v[4:5], -v[8:9]
	v_fma_f64 v[4:5], s[6:7], v[8:9], v[0:1]
	v_fmac_f64_e32 v[0:1], s[0:1], v[8:9]
	v_add_f64 v[8:9], v[124:125], v[12:13]
	v_accvgpr_read_b32 v12, a5
	v_accvgpr_read_b32 v13, a14
	v_add_u32_sdwa v12, v13, v12 dst_sel:DWORD dst_unused:UNUSED_PAD src0_sel:DWORD src1_sel:BYTE_0
	v_accvgpr_read_b32 v13, a1
	v_add_f64 v[8:9], v[8:9], v[14:15]
	v_lshl_add_u32 v12, v12, 4, v13
	ds_write_b128 v12, v[8:11]
	ds_write_b128 v12, v[0:3] offset:208
	ds_write_b128 v12, v[4:7] offset:416
.LBB0_21:
	s_or_b64 exec, exec, s[16:17]
	s_waitcnt lgkmcnt(0)
	s_barrier
	ds_read_b128 v[4:7], v152
	ds_read_b128 v[0:3], v152 offset:624
	ds_read_b128 v[8:11], v152 offset:1248
	ds_read_b128 v[12:15], v152 offset:1872
	ds_read_b128 v[18:21], v152 offset:2496
	ds_read_b128 v[22:25], v152 offset:3120
	ds_read_b128 v[26:29], v152 offset:3744
	ds_read_b128 v[30:33], v152 offset:4368
	ds_read_b128 v[76:79], v152 offset:4992
	ds_read_b128 v[80:83], v152 offset:5616
	ds_read_b128 v[84:87], v152 offset:6240
	s_waitcnt lgkmcnt(9)
	v_mul_f64 v[34:35], v[50:51], v[2:3]
	v_fmac_f64_e32 v[34:35], v[48:49], v[0:1]
	v_mul_f64 v[0:1], v[50:51], v[0:1]
	v_fma_f64 v[48:49], v[48:49], v[2:3], -v[0:1]
	s_waitcnt lgkmcnt(8)
	v_mul_f64 v[50:51], v[46:47], v[10:11]
	v_mul_f64 v[0:1], v[46:47], v[8:9]
	v_fmac_f64_e32 v[50:51], v[44:45], v[8:9]
	v_fma_f64 v[44:45], v[44:45], v[10:11], -v[0:1]
	s_waitcnt lgkmcnt(7)
	v_mul_f64 v[46:47], v[42:43], v[14:15]
	v_mul_f64 v[0:1], v[42:43], v[12:13]
	v_fmac_f64_e32 v[46:47], v[40:41], v[12:13]
	;; [unrolled: 5-line block ×3, first 2 shown]
	v_fma_f64 v[18:19], v[36:37], v[20:21], -v[0:1]
	s_waitcnt lgkmcnt(5)
	v_mul_f64 v[0:1], v[66:67], v[22:23]
	v_fma_f64 v[10:11], v[64:65], v[24:25], -v[0:1]
	s_waitcnt lgkmcnt(4)
	v_mul_f64 v[0:1], v[62:63], v[26:27]
	v_mul_f64 v[8:9], v[66:67], v[24:25]
	v_fma_f64 v[14:15], v[60:61], v[28:29], -v[0:1]
	s_waitcnt lgkmcnt(3)
	v_mul_f64 v[0:1], v[58:59], v[30:31]
	v_fmac_f64_e32 v[8:9], v[64:65], v[22:23]
	v_mul_f64 v[12:13], v[62:63], v[28:29]
	v_fma_f64 v[22:23], v[56:57], v[32:33], -v[0:1]
	s_waitcnt lgkmcnt(2)
	v_mul_f64 v[0:1], v[54:55], v[76:77]
	v_fmac_f64_e32 v[12:13], v[60:61], v[26:27]
	;; [unrolled: 5-line block ×3, first 2 shown]
	v_fma_f64 v[30:31], v[72:73], v[82:83], -v[0:1]
	s_waitcnt lgkmcnt(0)
	v_mul_f64 v[0:1], v[70:71], v[84:85]
	v_fma_f64 v[36:37], v[68:69], v[86:87], -v[0:1]
	v_add_f64 v[0:1], v[4:5], v[34:35]
	v_add_f64 v[2:3], v[6:7], v[48:49]
	;; [unrolled: 1-line block ×9, first 2 shown]
	v_mul_f64 v[24:25], v[54:55], v[78:79]
	v_add_f64 v[2:3], v[2:3], v[10:11]
	v_add_f64 v[0:1], v[0:1], v[12:13]
	v_fmac_f64_e32 v[24:25], v[52:53], v[76:77]
	v_mul_f64 v[28:29], v[74:75], v[82:83]
	v_add_f64 v[2:3], v[2:3], v[14:15]
	v_add_f64 v[0:1], v[0:1], v[20:21]
	v_fmac_f64_e32 v[28:29], v[72:73], v[80:81]
	;; [unrolled: 4-line block ×3, first 2 shown]
	v_add_f64 v[2:3], v[2:3], v[26:27]
	v_add_f64 v[0:1], v[0:1], v[28:29]
	s_mov_b32 s20, 0xf8bb580b
	s_mov_b32 s2, 0x8eee2c13
	;; [unrolled: 1-line block ×5, first 2 shown]
	v_add_f64 v[2:3], v[2:3], v[30:31]
	v_add_f64 v[0:1], v[0:1], v[32:33]
	v_add_f64 v[38:39], v[34:35], v[32:33]
	v_add_f64 v[32:33], v[34:35], -v[32:33]
	v_add_f64 v[34:35], v[48:49], -v[36:37]
	s_mov_b32 s21, 0xbfe14ced
	s_mov_b32 s22, 0x8764f0ba
	;; [unrolled: 1-line block ×10, first 2 shown]
	v_add_f64 v[2:3], v[2:3], v[36:37]
	v_add_f64 v[42:43], v[48:49], v[36:37]
	v_mul_f64 v[36:37], v[34:35], s[20:21]
	s_mov_b32 s23, 0x3feaeb8c
	v_mul_f64 v[56:57], v[34:35], s[2:3]
	s_mov_b32 s7, 0x3fda9628
	;; [unrolled: 2-line block ×5, first 2 shown]
	v_fma_f64 v[48:49], s[22:23], v[38:39], v[36:37]
	v_fma_f64 v[36:37], v[38:39], s[22:23], -v[36:37]
	v_fma_f64 v[58:59], s[6:7], v[38:39], v[56:57]
	v_fma_f64 v[56:57], v[38:39], s[6:7], -v[56:57]
	;; [unrolled: 2-line block ×5, first 2 shown]
	v_add_f64 v[48:49], v[4:5], v[48:49]
	v_mul_f64 v[52:53], v[42:43], s[22:23]
	s_mov_b32 s25, 0x3fe14ced
	s_mov_b32 s24, s20
	v_add_f64 v[36:37], v[4:5], v[36:37]
	v_add_f64 v[58:59], v[4:5], v[58:59]
	v_mul_f64 v[60:61], v[42:43], s[6:7]
	s_mov_b32 s17, 0x3fed1bb4
	s_mov_b32 s16, s2
	v_add_f64 v[56:57], v[4:5], v[56:57]
	;; [unrolled: 5-line block ×5, first 2 shown]
	v_add_f64 v[34:35], v[44:45], v[30:31]
	v_add_f64 v[30:31], v[44:45], -v[30:31]
	v_fma_f64 v[54:55], s[24:25], v[32:33], v[52:53]
	v_fmac_f64_e32 v[52:53], s[20:21], v[32:33]
	v_fma_f64 v[62:63], s[16:17], v[32:33], v[60:61]
	v_fmac_f64_e32 v[60:61], s[2:3], v[32:33]
	;; [unrolled: 2-line block ×5, first 2 shown]
	v_add_f64 v[32:33], v[50:51], v[28:29]
	v_mul_f64 v[38:39], v[30:31], s[2:3]
	v_add_f64 v[54:55], v[6:7], v[54:55]
	v_add_f64 v[52:53], v[6:7], v[52:53]
	;; [unrolled: 1-line block ×10, first 2 shown]
	v_add_f64 v[28:29], v[50:51], -v[28:29]
	v_fma_f64 v[42:43], s[6:7], v[32:33], v[38:39]
	v_mul_f64 v[44:45], v[34:35], s[6:7]
	v_add_f64 v[42:43], v[42:43], v[48:49]
	v_fma_f64 v[48:49], s[16:17], v[28:29], v[44:45]
	v_fma_f64 v[38:39], v[32:33], s[6:7], -v[38:39]
	v_fmac_f64_e32 v[44:45], s[2:3], v[28:29]
	v_add_f64 v[36:37], v[38:39], v[36:37]
	v_add_f64 v[38:39], v[44:45], v[52:53]
	v_mul_f64 v[44:45], v[30:31], s[28:29]
	v_fma_f64 v[50:51], s[30:31], v[32:33], v[44:45]
	v_fma_f64 v[44:45], v[32:33], s[30:31], -v[44:45]
	v_add_f64 v[44:45], v[44:45], v[56:57]
	v_mul_f64 v[56:57], v[30:31], s[40:41]
	v_add_f64 v[50:51], v[50:51], v[58:59]
	v_mul_f64 v[52:53], v[34:35], s[30:31]
	v_fma_f64 v[58:59], s[38:39], v[32:33], v[56:57]
	v_fma_f64 v[56:57], v[32:33], s[38:39], -v[56:57]
	v_add_f64 v[48:49], v[48:49], v[54:55]
	v_fma_f64 v[54:55], s[34:35], v[28:29], v[52:53]
	v_fmac_f64_e32 v[52:53], s[28:29], v[28:29]
	v_add_f64 v[56:57], v[56:57], v[64:65]
	v_mul_f64 v[64:65], v[30:31], s[26:27]
	v_add_f64 v[52:53], v[52:53], v[60:61]
	v_add_f64 v[58:59], v[58:59], v[66:67]
	v_mul_f64 v[60:61], v[34:35], s[38:39]
	v_fma_f64 v[66:67], s[18:19], v[32:33], v[64:65]
	v_fma_f64 v[64:65], v[32:33], s[18:19], -v[64:65]
	v_mul_f64 v[30:31], v[30:31], s[24:25]
	v_add_f64 v[54:55], v[54:55], v[62:63]
	v_fma_f64 v[62:63], s[36:37], v[28:29], v[60:61]
	v_fmac_f64_e32 v[60:61], s[40:41], v[28:29]
	v_add_f64 v[64:65], v[64:65], v[72:73]
	v_fma_f64 v[72:73], s[22:23], v[32:33], v[30:31]
	v_fma_f64 v[30:31], v[32:33], s[22:23], -v[30:31]
	v_add_f64 v[60:61], v[60:61], v[68:69]
	v_mul_f64 v[68:69], v[34:35], s[18:19]
	v_mul_f64 v[34:35], v[34:35], s[22:23]
	v_add_f64 v[4:5], v[30:31], v[4:5]
	v_add_f64 v[30:31], v[40:41], v[26:27]
	v_add_f64 v[26:27], v[40:41], -v[26:27]
	v_add_f64 v[62:63], v[62:63], v[70:71]
	v_add_f64 v[66:67], v[66:67], v[74:75]
	v_fma_f64 v[70:71], s[0:1], v[28:29], v[68:69]
	v_fmac_f64_e32 v[68:69], s[26:27], v[28:29]
	v_fma_f64 v[74:75], s[20:21], v[28:29], v[34:35]
	v_fmac_f64_e32 v[34:35], s[24:25], v[28:29]
	v_add_f64 v[28:29], v[46:47], v[24:25]
	v_mul_f64 v[32:33], v[26:27], s[0:1]
	v_add_f64 v[6:7], v[34:35], v[6:7]
	v_add_f64 v[24:25], v[46:47], -v[24:25]
	v_fma_f64 v[34:35], s[18:19], v[28:29], v[32:33]
	v_mul_f64 v[40:41], v[30:31], s[18:19]
	v_add_f64 v[34:35], v[34:35], v[42:43]
	v_fma_f64 v[42:43], s[26:27], v[24:25], v[40:41]
	v_fma_f64 v[32:33], v[28:29], s[18:19], -v[32:33]
	v_fmac_f64_e32 v[40:41], s[0:1], v[24:25]
	v_add_f64 v[32:33], v[32:33], v[36:37]
	v_add_f64 v[36:37], v[40:41], v[38:39]
	v_mul_f64 v[38:39], v[26:27], s[40:41]
	v_mul_f64 v[46:47], v[30:31], s[38:39]
	v_add_f64 v[42:43], v[42:43], v[48:49]
	v_fma_f64 v[40:41], s[38:39], v[28:29], v[38:39]
	v_fma_f64 v[48:49], s[36:37], v[24:25], v[46:47]
	v_fma_f64 v[38:39], v[28:29], s[38:39], -v[38:39]
	v_fmac_f64_e32 v[46:47], s[40:41], v[24:25]
	v_add_f64 v[38:39], v[38:39], v[44:45]
	v_add_f64 v[44:45], v[46:47], v[52:53]
	v_mul_f64 v[46:47], v[26:27], s[16:17]
	v_add_f64 v[40:41], v[40:41], v[50:51]
	v_fma_f64 v[50:51], s[6:7], v[28:29], v[46:47]
	v_fma_f64 v[46:47], v[28:29], s[6:7], -v[46:47]
	v_add_f64 v[46:47], v[46:47], v[56:57]
	v_mul_f64 v[56:57], v[26:27], s[20:21]
	v_add_f64 v[50:51], v[50:51], v[58:59]
	v_mul_f64 v[52:53], v[30:31], s[6:7]
	v_fma_f64 v[58:59], s[22:23], v[28:29], v[56:57]
	v_fma_f64 v[56:57], v[28:29], s[22:23], -v[56:57]
	v_mul_f64 v[26:27], v[26:27], s[28:29]
	v_add_f64 v[48:49], v[48:49], v[54:55]
	v_fma_f64 v[54:55], s[2:3], v[24:25], v[52:53]
	v_fmac_f64_e32 v[52:53], s[16:17], v[24:25]
	v_add_f64 v[56:57], v[56:57], v[64:65]
	v_fma_f64 v[64:65], s[30:31], v[28:29], v[26:27]
	v_fma_f64 v[26:27], v[28:29], s[30:31], -v[26:27]
	v_add_f64 v[52:53], v[52:53], v[60:61]
	v_mul_f64 v[60:61], v[30:31], s[22:23]
	v_mul_f64 v[30:31], v[30:31], s[30:31]
	v_add_f64 v[4:5], v[26:27], v[4:5]
	v_add_f64 v[26:27], v[18:19], v[22:23]
	v_add_f64 v[18:19], v[18:19], -v[22:23]
	v_add_f64 v[54:55], v[54:55], v[62:63]
	v_add_f64 v[58:59], v[58:59], v[66:67]
	v_fma_f64 v[62:63], s[24:25], v[24:25], v[60:61]
	v_fmac_f64_e32 v[60:61], s[20:21], v[24:25]
	v_fma_f64 v[66:67], s[34:35], v[24:25], v[30:31]
	v_fmac_f64_e32 v[30:31], s[28:29], v[24:25]
	v_add_f64 v[24:25], v[16:17], v[20:21]
	v_add_f64 v[16:17], v[16:17], -v[20:21]
	v_mul_f64 v[20:21], v[18:19], s[28:29]
	v_fma_f64 v[22:23], s[30:31], v[24:25], v[20:21]
	v_fma_f64 v[20:21], v[24:25], s[30:31], -v[20:21]
	v_mul_f64 v[28:29], v[26:27], s[30:31]
	v_add_f64 v[20:21], v[20:21], v[32:33]
	v_mul_f64 v[32:33], v[18:19], s[26:27]
	v_add_f64 v[6:7], v[30:31], v[6:7]
	v_add_f64 v[22:23], v[22:23], v[34:35]
	v_fma_f64 v[30:31], s[34:35], v[16:17], v[28:29]
	v_fmac_f64_e32 v[28:29], s[28:29], v[16:17]
	v_fma_f64 v[34:35], s[18:19], v[24:25], v[32:33]
	v_fma_f64 v[32:33], v[24:25], s[18:19], -v[32:33]
	v_add_f64 v[28:29], v[28:29], v[36:37]
	v_mul_f64 v[36:37], v[26:27], s[18:19]
	v_add_f64 v[32:33], v[32:33], v[38:39]
	v_mul_f64 v[38:39], v[18:19], s[20:21]
	v_add_f64 v[30:31], v[30:31], v[42:43]
	v_add_f64 v[34:35], v[34:35], v[40:41]
	v_fma_f64 v[40:41], s[0:1], v[16:17], v[36:37]
	v_fmac_f64_e32 v[36:37], s[26:27], v[16:17]
	v_fma_f64 v[42:43], s[22:23], v[24:25], v[38:39]
	v_fma_f64 v[38:39], v[24:25], s[22:23], -v[38:39]
	v_add_f64 v[36:37], v[36:37], v[44:45]
	v_mul_f64 v[44:45], v[26:27], s[22:23]
	v_add_f64 v[38:39], v[38:39], v[46:47]
	v_mul_f64 v[46:47], v[18:19], s[36:37]
	v_add_f64 v[70:71], v[70:71], v[78:79]
	v_add_f64 v[72:73], v[72:73], v[80:81]
	;; [unrolled: 1-line block ×4, first 2 shown]
	v_fma_f64 v[48:49], s[24:25], v[16:17], v[44:45]
	v_fmac_f64_e32 v[44:45], s[20:21], v[16:17]
	v_fma_f64 v[50:51], s[38:39], v[24:25], v[46:47]
	v_fma_f64 v[46:47], v[24:25], s[38:39], -v[46:47]
	v_mul_f64 v[18:19], v[18:19], s[16:17]
	v_add_f64 v[68:69], v[68:69], v[76:77]
	v_add_f64 v[74:75], v[74:75], v[82:83]
	;; [unrolled: 1-line block ×5, first 2 shown]
	v_mul_f64 v[52:53], v[26:27], s[38:39]
	v_add_f64 v[46:47], v[46:47], v[56:57]
	v_fma_f64 v[56:57], s[6:7], v[24:25], v[18:19]
	v_mul_f64 v[26:27], v[26:27], s[6:7]
	v_add_f64 v[70:71], v[10:11], -v[14:15]
	v_add_f64 v[60:61], v[60:61], v[68:69]
	v_add_f64 v[66:67], v[66:67], v[74:75]
	;; [unrolled: 1-line block ×4, first 2 shown]
	v_fma_f64 v[54:55], s[40:41], v[16:17], v[52:53]
	v_fmac_f64_e32 v[52:53], s[36:37], v[16:17]
	v_add_f64 v[56:57], v[56:57], v[64:65]
	v_fma_f64 v[58:59], s[2:3], v[16:17], v[26:27]
	v_fma_f64 v[18:19], v[24:25], s[6:7], -v[18:19]
	v_add_f64 v[64:65], v[8:9], v[12:13]
	v_add_f64 v[68:69], v[8:9], -v[12:13]
	v_mul_f64 v[8:9], v[70:71], s[36:37]
	v_add_f64 v[52:53], v[52:53], v[60:61]
	v_add_f64 v[58:59], v[58:59], v[66:67]
	;; [unrolled: 1-line block ×4, first 2 shown]
	v_fma_f64 v[4:5], s[38:39], v[64:65], v[8:9]
	v_fma_f64 v[8:9], v[64:65], s[38:39], -v[8:9]
	v_mul_f64 v[24:25], v[70:71], s[28:29]
	v_fmac_f64_e32 v[26:27], s[16:17], v[16:17]
	v_add_f64 v[8:9], v[8:9], v[20:21]
	v_mul_f64 v[16:17], v[70:71], s[24:25]
	v_mul_f64 v[18:19], v[66:67], s[22:23]
	v_fma_f64 v[20:21], s[30:31], v[64:65], v[24:25]
	v_mul_f64 v[10:11], v[66:67], s[38:39]
	v_fma_f64 v[12:13], s[22:23], v[64:65], v[16:17]
	v_fma_f64 v[14:15], s[20:21], v[68:69], v[18:19]
	v_fma_f64 v[16:17], v[64:65], s[22:23], -v[16:17]
	v_add_f64 v[20:21], v[20:21], v[42:43]
	v_fma_f64 v[24:25], v[64:65], s[30:31], -v[24:25]
	v_mul_f64 v[42:43], v[66:67], s[18:19]
	v_add_f64 v[54:55], v[54:55], v[62:63]
	v_add_f64 v[62:63], v[26:27], v[6:7]
	v_fma_f64 v[6:7], s[40:41], v[68:69], v[10:11]
	v_fmac_f64_e32 v[10:11], s[36:37], v[68:69]
	v_add_f64 v[12:13], v[12:13], v[34:35]
	v_add_f64 v[14:15], v[14:15], v[40:41]
	;; [unrolled: 1-line block ×3, first 2 shown]
	v_fmac_f64_e32 v[18:19], s[24:25], v[68:69]
	v_mul_f64 v[26:27], v[66:67], s[30:31]
	v_add_f64 v[24:25], v[24:25], v[38:39]
	v_mul_f64 v[32:33], v[70:71], s[16:17]
	v_mul_f64 v[34:35], v[66:67], s[6:7]
	;; [unrolled: 1-line block ×3, first 2 shown]
	v_fma_f64 v[38:39], s[26:27], v[68:69], v[42:43]
	v_fmac_f64_e32 v[42:43], s[0:1], v[68:69]
	v_add_f64 v[4:5], v[4:5], v[22:23]
	v_add_f64 v[6:7], v[6:7], v[30:31]
	;; [unrolled: 1-line block ×4, first 2 shown]
	v_fma_f64 v[22:23], s[34:35], v[68:69], v[26:27]
	v_fmac_f64_e32 v[26:27], s[28:29], v[68:69]
	v_fma_f64 v[28:29], s[6:7], v[64:65], v[32:33]
	v_fma_f64 v[30:31], s[2:3], v[68:69], v[34:35]
	v_fma_f64 v[32:33], v[64:65], s[6:7], -v[32:33]
	v_fmac_f64_e32 v[34:35], s[16:17], v[68:69]
	v_fma_f64 v[36:37], s[18:19], v[64:65], v[40:41]
	v_fma_f64 v[40:41], v[64:65], s[18:19], -v[40:41]
	v_add_f64 v[42:43], v[42:43], v[62:63]
	s_and_b64 s[0:1], exec, s[4:5]
	v_accvgpr_read_b32 v62, a0
	v_add_f64 v[22:23], v[22:23], v[48:49]
	v_add_f64 v[26:27], v[26:27], v[44:45]
	;; [unrolled: 1-line block ×9, first 2 shown]
	ds_write_b128 v153, v[0:3]
	ds_write_b128 v153, v[4:7] offset:624
	ds_write_b128 v153, v[12:15] offset:1248
	;; [unrolled: 1-line block ×10, first 2 shown]
	s_waitcnt lgkmcnt(0)
	s_barrier
	s_mov_b64 exec, s[0:1]
	s_cbranch_execz .LBB0_23
; %bb.22:
	v_accvgpr_read_b32 v58, a4
	global_load_dwordx4 v[0:3], v58, s[12:13]
	global_load_dwordx4 v[4:7], v58, s[12:13] offset:528
	global_load_dwordx4 v[8:11], v58, s[12:13] offset:1056
	;; [unrolled: 1-line block ×5, first 2 shown]
	ds_read_b128 v[24:27], v153
	ds_read_b128 v[28:31], v153 offset:528
	ds_read_b128 v[32:35], v153 offset:1056
	;; [unrolled: 1-line block ×5, first 2 shown]
	global_load_dwordx4 v[48:51], v58, s[12:13] offset:3168
	global_load_dwordx4 v[52:55], v58, s[12:13] offset:3696
	v_accvgpr_read_b32 v64, a2
	v_mov_b32_e32 v59, 0
	v_mad_u64_u32 v[76:77], s[2:3], s8, v64, 0
	v_mad_u64_u32 v[74:75], s[0:1], s10, v62, 0
	s_movk_i32 s3, 0x1000
	v_lshl_add_u64 v[58:59], s[12:13], 0, v[58:59]
	v_mov_b32_e32 v56, v75
	v_mov_b32_e32 v60, v77
	v_add_co_u32_e32 v78, vcc, s3, v58
	v_mad_u64_u32 v[56:57], s[4:5], s11, v62, v[56:57]
	v_mad_u64_u32 v[60:61], s[4:5], s9, v64, v[60:61]
	v_addc_co_u32_e32 v79, vcc, 0, v59, vcc
	v_mov_b32_e32 v75, v56
	v_mov_b32_e32 v77, v60
	global_load_dwordx4 v[56:59], v[78:79], off offset:128
	global_load_dwordx4 v[60:63], v[78:79], off offset:656
	global_load_dwordx4 v[64:67], v[78:79], off offset:1184
	global_load_dwordx4 v[68:71], v[78:79], off offset:1712
	v_mov_b32_e32 v72, s14
	v_mov_b32_e32 v73, s15
	v_lshl_add_u64 v[72:73], v[74:75], 4, v[72:73]
	v_mov_b32_e32 v92, 0x210
	v_lshl_add_u64 v[72:73], v[76:77], 4, v[72:73]
	s_mul_i32 s2, s9, 0x210
	v_mad_u64_u32 v[74:75], s[4:5], s8, v92, v[72:73]
	v_add_u32_e32 v75, s2, v75
	s_mov_b32 s0, 0x58e9ebb6
	v_mad_u64_u32 v[76:77], s[4:5], s8, v92, v[74:75]
	s_mov_b32 s1, 0x3f631877
	v_add_u32_e32 v77, s2, v77
	v_mad_u64_u32 v[80:81], s[4:5], s8, v92, v[76:77]
	v_add_u32_e32 v81, s2, v81
	s_waitcnt vmcnt(11) lgkmcnt(5)
	v_mul_f64 v[82:83], v[26:27], v[2:3]
	v_mul_f64 v[2:3], v[24:25], v[2:3]
	s_waitcnt vmcnt(10) lgkmcnt(4)
	v_mul_f64 v[84:85], v[30:31], v[6:7]
	v_mul_f64 v[6:7], v[28:29], v[6:7]
	;; [unrolled: 3-line block ×4, first 2 shown]
	v_fmac_f64_e32 v[82:83], v[24:25], v[0:1]
	v_fma_f64 v[2:3], v[0:1], v[26:27], -v[2:3]
	v_fmac_f64_e32 v[84:85], v[28:29], v[4:5]
	v_fma_f64 v[6:7], v[4:5], v[30:31], -v[6:7]
	;; [unrolled: 2-line block ×4, first 2 shown]
	v_mul_f64 v[0:1], v[82:83], s[0:1]
	v_mul_f64 v[2:3], v[2:3], s[0:1]
	s_waitcnt vmcnt(7) lgkmcnt(1)
	v_mul_f64 v[90:91], v[42:43], v[18:19]
	v_mul_f64 v[4:5], v[84:85], s[0:1]
	;; [unrolled: 1-line block ×7, first 2 shown]
	global_store_dwordx4 v[72:73], v[0:3], off
	global_store_dwordx4 v[74:75], v[4:7], off
	;; [unrolled: 1-line block ×4, first 2 shown]
	v_mul_f64 v[2:3], v[40:41], v[18:19]
	v_fmac_f64_e32 v[90:91], v[40:41], v[16:17]
	v_fma_f64 v[2:3], v[16:17], v[42:43], -v[2:3]
	v_mad_u64_u32 v[8:9], s[4:5], s8, v92, v[80:81]
	v_mul_f64 v[0:1], v[90:91], s[0:1]
	v_mul_f64 v[2:3], v[2:3], s[0:1]
	v_add_u32_e32 v9, s2, v9
	global_store_dwordx4 v[8:9], v[0:3], off
	ds_read_b128 v[4:7], v153 offset:3168
	v_mad_u64_u32 v[12:13], s[4:5], s8, v92, v[8:9]
	s_waitcnt vmcnt(11) lgkmcnt(1)
	v_mul_f64 v[0:1], v[46:47], v[22:23]
	v_mul_f64 v[2:3], v[44:45], v[22:23]
	v_fmac_f64_e32 v[0:1], v[44:45], v[20:21]
	v_fma_f64 v[2:3], v[20:21], v[46:47], -v[2:3]
	v_mul_f64 v[0:1], v[0:1], s[0:1]
	v_mul_f64 v[2:3], v[2:3], s[0:1]
	v_add_u32_e32 v13, s2, v13
	global_store_dwordx4 v[12:13], v[0:3], off
	ds_read_b128 v[0:3], v153 offset:3696
	s_waitcnt vmcnt(11) lgkmcnt(1)
	v_mul_f64 v[8:9], v[6:7], v[50:51]
	v_fmac_f64_e32 v[8:9], v[4:5], v[48:49]
	v_mul_f64 v[4:5], v[4:5], v[50:51]
	v_fma_f64 v[4:5], v[48:49], v[6:7], -v[4:5]
	v_mul_f64 v[10:11], v[4:5], s[0:1]
	s_waitcnt vmcnt(10) lgkmcnt(0)
	v_mul_f64 v[4:5], v[2:3], v[54:55]
	v_fmac_f64_e32 v[4:5], v[0:1], v[52:53]
	v_mul_f64 v[0:1], v[0:1], v[54:55]
	v_mad_u64_u32 v[12:13], s[4:5], s8, v92, v[12:13]
	v_fma_f64 v[0:1], v[52:53], v[2:3], -v[0:1]
	v_mul_f64 v[8:9], v[8:9], s[0:1]
	v_add_u32_e32 v13, s2, v13
	v_mul_f64 v[6:7], v[0:1], s[0:1]
	ds_read_b128 v[0:3], v153 offset:4224
	global_store_dwordx4 v[12:13], v[8:11], off
	v_mad_u64_u32 v[12:13], s[4:5], s8, v92, v[12:13]
	v_mul_f64 v[4:5], v[4:5], s[0:1]
	v_add_u32_e32 v13, s2, v13
	global_store_dwordx4 v[12:13], v[4:7], off
	ds_read_b128 v[4:7], v153 offset:4752
	s_waitcnt vmcnt(11) lgkmcnt(1)
	v_mul_f64 v[8:9], v[2:3], v[58:59]
	v_fmac_f64_e32 v[8:9], v[0:1], v[56:57]
	v_mul_f64 v[0:1], v[0:1], v[58:59]
	v_fma_f64 v[0:1], v[56:57], v[2:3], -v[0:1]
	v_mul_f64 v[10:11], v[0:1], s[0:1]
	v_mad_u64_u32 v[12:13], s[4:5], s8, v92, v[12:13]
	s_waitcnt vmcnt(10) lgkmcnt(0)
	v_mul_f64 v[0:1], v[6:7], v[62:63]
	v_mul_f64 v[2:3], v[4:5], v[62:63]
	;; [unrolled: 1-line block ×3, first 2 shown]
	v_add_u32_e32 v13, s2, v13
	v_fmac_f64_e32 v[0:1], v[4:5], v[60:61]
	v_fma_f64 v[2:3], v[60:61], v[6:7], -v[2:3]
	ds_read_b128 v[4:7], v153 offset:5280
	global_store_dwordx4 v[12:13], v[8:11], off
	v_mad_u64_u32 v[12:13], s[4:5], s8, v92, v[12:13]
	v_mul_f64 v[0:1], v[0:1], s[0:1]
	v_mul_f64 v[2:3], v[2:3], s[0:1]
	v_add_u32_e32 v13, s2, v13
	global_store_dwordx4 v[12:13], v[0:3], off
	ds_read_b128 v[0:3], v153 offset:5808
	s_waitcnt vmcnt(11) lgkmcnt(1)
	v_mul_f64 v[8:9], v[6:7], v[66:67]
	v_fmac_f64_e32 v[8:9], v[4:5], v[64:65]
	v_mul_f64 v[4:5], v[4:5], v[66:67]
	v_fma_f64 v[4:5], v[64:65], v[6:7], -v[4:5]
	v_mul_f64 v[10:11], v[4:5], s[0:1]
	v_mad_u64_u32 v[12:13], s[4:5], s8, v92, v[12:13]
	s_waitcnt vmcnt(10) lgkmcnt(0)
	v_mul_f64 v[4:5], v[2:3], v[70:71]
	v_mul_f64 v[8:9], v[8:9], s[0:1]
	v_add_u32_e32 v13, s2, v13
	v_fmac_f64_e32 v[4:5], v[0:1], v[68:69]
	v_mul_f64 v[0:1], v[0:1], v[70:71]
	global_store_dwordx4 v[12:13], v[8:11], off
	v_fma_f64 v[0:1], v[68:69], v[2:3], -v[0:1]
	v_mad_u64_u32 v[12:13], s[4:5], s8, v92, v[12:13]
	v_mul_f64 v[4:5], v[4:5], s[0:1]
	v_mul_f64 v[6:7], v[0:1], s[0:1]
	v_add_u32_e32 v13, s2, v13
	global_store_dwordx4 v[12:13], v[4:7], off
	global_load_dwordx4 v[0:3], v[78:79], off offset:2240
	ds_read_b128 v[4:7], v153 offset:6336
	s_waitcnt vmcnt(0) lgkmcnt(0)
	v_mul_f64 v[8:9], v[6:7], v[2:3]
	v_mul_f64 v[2:3], v[4:5], v[2:3]
	v_fmac_f64_e32 v[8:9], v[4:5], v[0:1]
	v_fma_f64 v[0:1], v[0:1], v[6:7], -v[2:3]
	v_mul_f64 v[8:9], v[8:9], s[0:1]
	v_mul_f64 v[10:11], v[0:1], s[0:1]
	v_mad_u64_u32 v[0:1], s[0:1], s8, v92, v[12:13]
	v_add_u32_e32 v1, s2, v1
	global_store_dwordx4 v[0:1], v[8:11], off
.LBB0_23:
	s_endpgm
	.section	.rodata,"a",@progbits
	.p2align	6, 0x0
	.amdhsa_kernel bluestein_single_back_len429_dim1_dp_op_CI_CI
		.amdhsa_group_segment_fixed_size 20592
		.amdhsa_private_segment_fixed_size 0
		.amdhsa_kernarg_size 104
		.amdhsa_user_sgpr_count 2
		.amdhsa_user_sgpr_dispatch_ptr 0
		.amdhsa_user_sgpr_queue_ptr 0
		.amdhsa_user_sgpr_kernarg_segment_ptr 1
		.amdhsa_user_sgpr_dispatch_id 0
		.amdhsa_user_sgpr_kernarg_preload_length 0
		.amdhsa_user_sgpr_kernarg_preload_offset 0
		.amdhsa_user_sgpr_private_segment_size 0
		.amdhsa_uses_dynamic_stack 0
		.amdhsa_enable_private_segment 0
		.amdhsa_system_sgpr_workgroup_id_x 1
		.amdhsa_system_sgpr_workgroup_id_y 0
		.amdhsa_system_sgpr_workgroup_id_z 0
		.amdhsa_system_sgpr_workgroup_info 0
		.amdhsa_system_vgpr_workitem_id 0
		.amdhsa_next_free_vgpr 332
		.amdhsa_next_free_sgpr 50
		.amdhsa_accum_offset 256
		.amdhsa_reserve_vcc 1
		.amdhsa_float_round_mode_32 0
		.amdhsa_float_round_mode_16_64 0
		.amdhsa_float_denorm_mode_32 3
		.amdhsa_float_denorm_mode_16_64 3
		.amdhsa_dx10_clamp 1
		.amdhsa_ieee_mode 1
		.amdhsa_fp16_overflow 0
		.amdhsa_tg_split 0
		.amdhsa_exception_fp_ieee_invalid_op 0
		.amdhsa_exception_fp_denorm_src 0
		.amdhsa_exception_fp_ieee_div_zero 0
		.amdhsa_exception_fp_ieee_overflow 0
		.amdhsa_exception_fp_ieee_underflow 0
		.amdhsa_exception_fp_ieee_inexact 0
		.amdhsa_exception_int_div_zero 0
	.end_amdhsa_kernel
	.text
.Lfunc_end0:
	.size	bluestein_single_back_len429_dim1_dp_op_CI_CI, .Lfunc_end0-bluestein_single_back_len429_dim1_dp_op_CI_CI
                                        ; -- End function
	.section	.AMDGPU.csdata,"",@progbits
; Kernel info:
; codeLenInByte = 20756
; NumSgprs: 56
; NumVgprs: 256
; NumAgprs: 76
; TotalNumVgprs: 332
; ScratchSize: 0
; MemoryBound: 0
; FloatMode: 240
; IeeeMode: 1
; LDSByteSize: 20592 bytes/workgroup (compile time only)
; SGPRBlocks: 6
; VGPRBlocks: 41
; NumSGPRsForWavesPerEU: 56
; NumVGPRsForWavesPerEU: 332
; AccumOffset: 256
; Occupancy: 1
; WaveLimiterHint : 1
; COMPUTE_PGM_RSRC2:SCRATCH_EN: 0
; COMPUTE_PGM_RSRC2:USER_SGPR: 2
; COMPUTE_PGM_RSRC2:TRAP_HANDLER: 0
; COMPUTE_PGM_RSRC2:TGID_X_EN: 1
; COMPUTE_PGM_RSRC2:TGID_Y_EN: 0
; COMPUTE_PGM_RSRC2:TGID_Z_EN: 0
; COMPUTE_PGM_RSRC2:TIDIG_COMP_CNT: 0
; COMPUTE_PGM_RSRC3_GFX90A:ACCUM_OFFSET: 63
; COMPUTE_PGM_RSRC3_GFX90A:TG_SPLIT: 0
	.text
	.p2alignl 6, 3212836864
	.fill 256, 4, 3212836864
	.type	__hip_cuid_51b8a9ab10883ca6,@object ; @__hip_cuid_51b8a9ab10883ca6
	.section	.bss,"aw",@nobits
	.globl	__hip_cuid_51b8a9ab10883ca6
__hip_cuid_51b8a9ab10883ca6:
	.byte	0                               ; 0x0
	.size	__hip_cuid_51b8a9ab10883ca6, 1

	.ident	"AMD clang version 19.0.0git (https://github.com/RadeonOpenCompute/llvm-project roc-6.4.0 25133 c7fe45cf4b819c5991fe208aaa96edf142730f1d)"
	.section	".note.GNU-stack","",@progbits
	.addrsig
	.addrsig_sym __hip_cuid_51b8a9ab10883ca6
	.amdgpu_metadata
---
amdhsa.kernels:
  - .agpr_count:     76
    .args:
      - .actual_access:  read_only
        .address_space:  global
        .offset:         0
        .size:           8
        .value_kind:     global_buffer
      - .actual_access:  read_only
        .address_space:  global
        .offset:         8
        .size:           8
        .value_kind:     global_buffer
      - .actual_access:  read_only
        .address_space:  global
        .offset:         16
        .size:           8
        .value_kind:     global_buffer
      - .actual_access:  read_only
        .address_space:  global
        .offset:         24
        .size:           8
        .value_kind:     global_buffer
      - .actual_access:  read_only
        .address_space:  global
        .offset:         32
        .size:           8
        .value_kind:     global_buffer
      - .offset:         40
        .size:           8
        .value_kind:     by_value
      - .address_space:  global
        .offset:         48
        .size:           8
        .value_kind:     global_buffer
      - .address_space:  global
        .offset:         56
        .size:           8
        .value_kind:     global_buffer
      - .address_space:  global
        .offset:         64
        .size:           8
        .value_kind:     global_buffer
      - .address_space:  global
        .offset:         72
        .size:           8
        .value_kind:     global_buffer
      - .offset:         80
        .size:           4
        .value_kind:     by_value
      - .address_space:  global
        .offset:         88
        .size:           8
        .value_kind:     global_buffer
      - .address_space:  global
        .offset:         96
        .size:           8
        .value_kind:     global_buffer
    .group_segment_fixed_size: 20592
    .kernarg_segment_align: 8
    .kernarg_segment_size: 104
    .language:       OpenCL C
    .language_version:
      - 2
      - 0
    .max_flat_workgroup_size: 117
    .name:           bluestein_single_back_len429_dim1_dp_op_CI_CI
    .private_segment_fixed_size: 0
    .sgpr_count:     56
    .sgpr_spill_count: 0
    .symbol:         bluestein_single_back_len429_dim1_dp_op_CI_CI.kd
    .uniform_work_group_size: 1
    .uses_dynamic_stack: false
    .vgpr_count:     332
    .vgpr_spill_count: 0
    .wavefront_size: 64
amdhsa.target:   amdgcn-amd-amdhsa--gfx950
amdhsa.version:
  - 1
  - 2
...

	.end_amdgpu_metadata
